;; amdgpu-corpus repo=ROCm/rocFFT kind=compiled arch=gfx906 opt=O3
	.text
	.amdgcn_target "amdgcn-amd-amdhsa--gfx906"
	.amdhsa_code_object_version 6
	.protected	bluestein_single_fwd_len1568_dim1_half_op_CI_CI ; -- Begin function bluestein_single_fwd_len1568_dim1_half_op_CI_CI
	.globl	bluestein_single_fwd_len1568_dim1_half_op_CI_CI
	.p2align	8
	.type	bluestein_single_fwd_len1568_dim1_half_op_CI_CI,@function
bluestein_single_fwd_len1568_dim1_half_op_CI_CI: ; @bluestein_single_fwd_len1568_dim1_half_op_CI_CI
; %bb.0:
	s_load_dwordx4 s[8:11], s[4:5], 0x28
	v_mul_u32_u24_e32 v1, 0x125, v0
	v_add_u32_sdwa v10, s6, v1 dst_sel:DWORD dst_unused:UNUSED_PAD src0_sel:DWORD src1_sel:WORD_1
	v_mov_b32_e32 v11, 0
	s_waitcnt lgkmcnt(0)
	v_cmp_gt_u64_e32 vcc, s[8:9], v[10:11]
	s_and_saveexec_b64 s[0:1], vcc
	s_cbranch_execz .LBB0_47
; %bb.1:
	s_load_dwordx4 s[12:15], s[4:5], 0x18
	s_load_dwordx2 s[16:17], s[4:5], 0x0
	s_movk_i32 s6, 0xe0
	v_mul_lo_u16_sdwa v1, v1, s6 dst_sel:DWORD dst_unused:UNUSED_PAD src0_sel:WORD_1 src1_sel:DWORD
	v_sub_u16_e32 v24, v0, v1
	s_waitcnt lgkmcnt(0)
	s_load_dwordx4 s[0:3], s[12:13], 0x0
	v_lshlrev_b32_e32 v19, 2, v24
	s_movk_i32 s8, 0x1000
	s_waitcnt lgkmcnt(0)
	v_mad_u64_u32 v[0:1], s[6:7], s2, v10, 0
	v_mad_u64_u32 v[2:3], s[6:7], s0, v24, 0
	s_mul_hi_u32 s7, s0, 0x310
	s_mul_hi_u32 s9, s0, 0xfffffdd0
	v_mad_u64_u32 v[4:5], s[2:3], s3, v10, v[1:2]
	s_mul_i32 s6, s0, 0xfffffdd0
	v_mad_u64_u32 v[5:6], s[2:3], s1, v24, v[3:4]
	v_mov_b32_e32 v1, v4
	v_lshlrev_b64 v[0:1], 2, v[0:1]
	v_mov_b32_e32 v6, s11
	v_mov_b32_e32 v3, v5
	v_add_co_u32_e32 v4, vcc, s10, v0
	v_addc_co_u32_e32 v5, vcc, v6, v1, vcc
	v_lshlrev_b64 v[0:1], 2, v[2:3]
	s_mul_i32 s3, s1, 0x310
	v_add_co_u32_e32 v0, vcc, v4, v0
	s_mul_i32 s2, s0, 0x310
	s_add_i32 s3, s7, s3
	v_addc_co_u32_e32 v1, vcc, v5, v1, vcc
	s_mulk_i32 s1, 0xfdd0
	s_sub_i32 s0, s9, s0
	s_lshl_b64 s[12:13], s[2:3], 2
	s_add_i32 s7, s0, s1
	v_mov_b32_e32 v4, s13
	v_add_co_u32_e32 v2, vcc, s12, v0
	s_lshl_b64 s[18:19], s[6:7], 2
	v_addc_co_u32_e32 v3, vcc, v1, v4, vcc
	v_mov_b32_e32 v5, s19
	global_load_dword v6, v[0:1], off
	global_load_dword v7, v[2:3], off
	global_load_dword v26, v19, s[16:17]
	global_load_dword v23, v19, s[16:17] offset:896
	global_load_dword v21, v19, s[16:17] offset:1792
	;; [unrolled: 1-line block ×4, first 2 shown]
	v_add_co_u32_e32 v0, vcc, s18, v2
	v_addc_co_u32_e32 v1, vcc, v3, v5, vcc
	global_load_dword v11, v[0:1], off
	v_mov_b32_e32 v2, s17
	v_add_co_u32_e32 v0, vcc, s12, v0
	v_add_co_u32_e64 v8, s[2:3], s16, v19
	v_addc_co_u32_e32 v1, vcc, v1, v4, vcc
	v_addc_co_u32_e64 v9, vcc, 0, v2, s[2:3]
	global_load_dword v12, v[0:1], off
	v_add_co_u32_e32 v0, vcc, s18, v0
	v_addc_co_u32_e32 v1, vcc, v1, v5, vcc
	global_load_dword v5, v[0:1], off
	v_add_co_u32_e32 v2, vcc, s8, v8
	v_addc_co_u32_e32 v3, vcc, 0, v9, vcc
	v_add_co_u32_e32 v0, vcc, s12, v0
	v_addc_co_u32_e32 v1, vcc, v1, v4, vcc
	global_load_dword v4, v[0:1], off
	global_load_dword v20, v[2:3], off offset:832
	s_load_dwordx2 s[6:7], s[4:5], 0x38
	s_load_dwordx4 s[8:11], s[14:15], 0x0
	s_movk_i32 s0, 0x70
	v_cmp_gt_u16_e64 s[0:1], s0, v24
	s_waitcnt vmcnt(11)
	v_lshrrev_b32_e32 v2, 16, v6
	s_waitcnt vmcnt(10)
	v_lshrrev_b32_e32 v13, 16, v7
	s_waitcnt vmcnt(9)
	v_mul_f16_sdwa v3, v26, v6 dst_sel:DWORD dst_unused:UNUSED_PAD src0_sel:WORD_1 src1_sel:DWORD
	v_fma_f16 v3, v26, v2, -v3
	v_mul_f16_sdwa v2, v26, v2 dst_sel:DWORD dst_unused:UNUSED_PAD src0_sel:WORD_1 src1_sel:DWORD
	v_fma_f16 v2, v26, v6, v2
	s_waitcnt vmcnt(5)
	v_mul_f16_sdwa v14, v25, v7 dst_sel:DWORD dst_unused:UNUSED_PAD src0_sel:WORD_1 src1_sel:DWORD
	v_fma_f16 v6, v25, v13, -v14
	v_mul_f16_sdwa v13, v25, v13 dst_sel:DWORD dst_unused:UNUSED_PAD src0_sel:WORD_1 src1_sel:DWORD
	v_pack_b32_f16 v2, v2, v3
	v_fma_f16 v3, v25, v7, v13
	s_waitcnt vmcnt(4)
	v_lshrrev_b32_e32 v14, 16, v11
	v_mul_f16_sdwa v15, v23, v11 dst_sel:DWORD dst_unused:UNUSED_PAD src0_sel:WORD_1 src1_sel:DWORD
	v_mul_f16_sdwa v13, v23, v14 dst_sel:DWORD dst_unused:UNUSED_PAD src0_sel:WORD_1 src1_sel:DWORD
	v_fma_f16 v7, v23, v14, -v15
	v_pack_b32_f16 v3, v3, v6
	v_fma_f16 v6, v23, v11, v13
	ds_write_b32 v19, v3 offset:3136
	v_pack_b32_f16 v3, v6, v7
	ds_write2_b32 v19, v2, v3 offset1:224
	s_waitcnt vmcnt(3)
	v_lshrrev_b32_e32 v14, 16, v12
	v_mul_f16_sdwa v15, v22, v12 dst_sel:DWORD dst_unused:UNUSED_PAD src0_sel:WORD_1 src1_sel:DWORD
	v_mul_f16_sdwa v11, v22, v14 dst_sel:DWORD dst_unused:UNUSED_PAD src0_sel:WORD_1 src1_sel:DWORD
	v_fma_f16 v6, v22, v12, v11
	v_fma_f16 v2, v22, v14, -v15
	s_waitcnt vmcnt(2)
	v_lshrrev_b32_e32 v3, 16, v5
	v_pack_b32_f16 v2, v6, v2
	v_mul_f16_sdwa v6, v21, v3 dst_sel:DWORD dst_unused:UNUSED_PAD src0_sel:WORD_1 src1_sel:DWORD
	v_fma_f16 v6, v21, v5, v6
	v_mul_f16_sdwa v5, v21, v5 dst_sel:DWORD dst_unused:UNUSED_PAD src0_sel:WORD_1 src1_sel:DWORD
	v_fma_f16 v3, v21, v3, -v5
	v_pack_b32_f16 v3, v6, v3
	ds_write_b32 v19, v3 offset:1792
	s_waitcnt vmcnt(1)
	v_lshrrev_b32_e32 v3, 16, v4
	s_waitcnt vmcnt(0)
	v_mul_f16_sdwa v5, v20, v3 dst_sel:DWORD dst_unused:UNUSED_PAD src0_sel:WORD_1 src1_sel:DWORD
	v_fma_f16 v5, v20, v4, v5
	v_mul_f16_sdwa v4, v20, v4 dst_sel:DWORD dst_unused:UNUSED_PAD src0_sel:WORD_1 src1_sel:DWORD
	v_fma_f16 v3, v20, v3, -v4
	v_pack_b32_f16 v3, v5, v3
	v_add_u32_e32 v4, 0xf80, v19
	ds_write2_b32 v4, v2, v3 offset0:16 offset1:240
	s_and_saveexec_b64 s[14:15], s[0:1]
	s_cbranch_execz .LBB0_3
; %bb.2:
	v_mov_b32_e32 v2, s19
	v_add_co_u32_e32 v0, vcc, s18, v0
	v_addc_co_u32_e32 v1, vcc, v1, v2, vcc
	global_load_dword v2, v[0:1], off
	global_load_dword v3, v[8:9], off offset:2688
	v_mov_b32_e32 v4, s13
	v_add_co_u32_e32 v0, vcc, s12, v0
	v_addc_co_u32_e32 v1, vcc, v1, v4, vcc
	global_load_dword v4, v[0:1], off
	v_add_co_u32_e32 v0, vcc, 0x1000, v8
	v_addc_co_u32_e32 v1, vcc, 0, v9, vcc
	global_load_dword v0, v[0:1], off offset:1728
	s_waitcnt vmcnt(3)
	v_lshrrev_b32_e32 v1, 16, v2
	s_waitcnt vmcnt(2)
	v_mul_f16_sdwa v5, v3, v2 dst_sel:DWORD dst_unused:UNUSED_PAD src0_sel:WORD_1 src1_sel:DWORD
	v_mul_f16_sdwa v6, v3, v1 dst_sel:DWORD dst_unused:UNUSED_PAD src0_sel:WORD_1 src1_sel:DWORD
	v_fma_f16 v1, v3, v1, -v5
	v_fma_f16 v2, v3, v2, v6
	v_pack_b32_f16 v1, v2, v1
	ds_write_b32 v19, v1 offset:2688
	s_waitcnt vmcnt(1)
	v_lshrrev_b32_e32 v5, 16, v4
	s_waitcnt vmcnt(0)
	v_mul_f16_sdwa v7, v0, v4 dst_sel:DWORD dst_unused:UNUSED_PAD src0_sel:WORD_1 src1_sel:DWORD
	v_mul_f16_sdwa v3, v0, v5 dst_sel:DWORD dst_unused:UNUSED_PAD src0_sel:WORD_1 src1_sel:DWORD
	v_fma_f16 v5, v0, v5, -v7
	v_fma_f16 v0, v0, v4, v3
	v_pack_b32_f16 v0, v0, v5
	ds_write_b32 v19, v0 offset:5824
.LBB0_3:
	s_or_b64 exec, exec, s[14:15]
	v_add_u32_e32 v0, 0xc00, v19
	s_waitcnt lgkmcnt(0)
	s_barrier
	ds_read2_b32 v[2:3], v19 offset1:224
	ds_read2_b32 v[0:1], v0 offset0:16 offset1:240
	ds_read_b32 v4, v19 offset:1792
	ds_read_b32 v5, v19 offset:4928
                                        ; implicit-def: $vgpr11
                                        ; implicit-def: $vgpr12
	s_and_saveexec_b64 s[12:13], s[0:1]
	s_cbranch_execz .LBB0_5
; %bb.4:
	ds_read_b32 v11, v19 offset:2688
	ds_read_b32 v12, v19 offset:5824
.LBB0_5:
	s_or_b64 exec, exec, s[12:13]
	s_load_dwordx2 s[4:5], s[4:5], 0x8
	v_lshlrev_b32_e32 v6, 1, v24
	s_waitcnt lgkmcnt(0)
	v_pk_add_f16 v13, v2, v0 neg_lo:[0,1] neg_hi:[0,1]
	v_add_co_u32_e32 v7, vcc, 0x2a0, v24
	v_pk_add_f16 v14, v3, v1 neg_lo:[0,1] neg_hi:[0,1]
	v_pk_add_f16 v5, v4, v5 neg_lo:[0,1] neg_hi:[0,1]
	;; [unrolled: 1-line block ×3, first 2 shown]
	v_lshlrev_b32_e32 v31, 3, v24
	v_pk_fma_f16 v12, v2, 2.0, v13 op_sel_hi:[1,0,1] neg_lo:[0,0,1] neg_hi:[0,0,1]
	v_lshlrev_b32_e32 v2, 2, v6
	v_pk_fma_f16 v0, v11, 2.0, v1 op_sel_hi:[1,0,1] neg_lo:[0,0,1] neg_hi:[0,0,1]
	s_barrier
	ds_write_b64 v31, v[12:13]
	v_add_u32_e32 v36, 0x1c0, v6
	v_pk_fma_f16 v13, v3, 2.0, v14 op_sel_hi:[1,0,1] neg_lo:[0,0,1] neg_hi:[0,0,1]
	v_add_u32_e32 v37, 0x380, v6
	v_pk_fma_f16 v4, v4, 2.0, v5 op_sel_hi:[1,0,1] neg_lo:[0,0,1] neg_hi:[0,0,1]
	v_add_u32_e32 v2, 0x700, v2
	v_lshlrev_b32_e32 v30, 3, v7
	ds_write2_b64 v2, v[13:14], v[4:5] offset1:224
	s_and_saveexec_b64 s[12:13], s[0:1]
	s_cbranch_execz .LBB0_7
; %bb.6:
	ds_write_b64 v30, v[0:1]
.LBB0_7:
	s_or_b64 exec, exec, s[12:13]
	v_add_u32_e32 v4, 0xc00, v19
	s_waitcnt lgkmcnt(0)
	s_barrier
	ds_read2_b32 v[2:3], v19 offset1:224
	ds_read2_b32 v[4:5], v4 offset0:16 offset1:240
	ds_read_b32 v13, v19 offset:1792
	ds_read_b32 v11, v19 offset:4928
	s_and_saveexec_b64 s[12:13], s[0:1]
	s_cbranch_execz .LBB0_9
; %bb.8:
	ds_read_b32 v0, v19 offset:2688
	ds_read_b32 v1, v19 offset:5824
.LBB0_9:
	s_or_b64 exec, exec, s[12:13]
	v_and_b32_e32 v28, 1, v24
	v_lshlrev_b32_e32 v12, 2, v28
	global_load_dword v29, v12, s[4:5]
	s_movk_i32 s12, 0x1fc
	s_movk_i32 s14, 0x7fc
	s_waitcnt lgkmcnt(2)
	v_lshrrev_b32_e32 v12, 16, v4
	s_waitcnt lgkmcnt(0)
	v_lshrrev_b32_e32 v27, 16, v1
	v_and_or_b32 v33, v6, s12, v28
	v_and_or_b32 v38, v37, s14, v28
	v_lshrrev_b32_e32 v16, 16, v5
	v_lshrrev_b32_e32 v18, 16, v11
	v_lshlrev_b32_e32 v35, 2, v33
	v_lshlrev_b32_e32 v33, 2, v38
	v_lshrrev_b32_e32 v14, 16, v2
	v_lshrrev_b32_e32 v15, 16, v3
	;; [unrolled: 1-line block ×4, first 2 shown]
	s_movk_i32 s13, 0x3fc
	v_and_or_b32 v34, v36, s13, v28
	v_lshlrev_b32_e32 v34, 2, v34
	s_waitcnt vmcnt(0)
	s_barrier
	v_mul_f16_sdwa v38, v12, v29 dst_sel:DWORD dst_unused:UNUSED_PAD src0_sel:DWORD src1_sel:WORD_1
	v_mul_f16_sdwa v39, v4, v29 dst_sel:DWORD dst_unused:UNUSED_PAD src0_sel:DWORD src1_sel:WORD_1
	;; [unrolled: 1-line block ×8, first 2 shown]
	v_fma_f16 v4, v4, v29, -v38
	v_fma_f16 v12, v12, v29, v39
	v_fma_f16 v1, v1, v29, -v45
	v_fma_f16 v5, v5, v29, -v40
	v_fma_f16 v16, v16, v29, v41
	v_fma_f16 v38, v11, v29, -v42
	v_fma_f16 v18, v18, v29, v43
	v_fma_f16 v27, v27, v29, v44
	v_sub_f16_e32 v39, v2, v4
	v_sub_f16_e32 v11, v0, v1
	;; [unrolled: 1-line block ×8, first 2 shown]
	v_fma_f16 v2, v2, 2.0, -v39
	v_fma_f16 v4, v0, 2.0, -v11
	v_fma_f16 v0, v14, 2.0, -v1
	v_fma_f16 v3, v3, 2.0, -v5
	v_pack_b32_f16 v1, v39, v1
	v_fma_f16 v14, v15, 2.0, -v16
	v_pack_b32_f16 v15, v5, v16
	v_fma_f16 v13, v13, 2.0, -v38
	v_fma_f16 v16, v17, 2.0, -v18
	;; [unrolled: 1-line block ×3, first 2 shown]
	v_pack_b32_f16 v0, v2, v0
	v_lshlrev_b32_e32 v27, 1, v7
	v_pack_b32_f16 v17, v38, v18
	v_pack_b32_f16 v2, v3, v14
	;; [unrolled: 1-line block ×3, first 2 shown]
	ds_write2_b32 v35, v0, v1 offset1:2
	ds_write2_b32 v34, v2, v15 offset1:2
	;; [unrolled: 1-line block ×3, first 2 shown]
	s_and_saveexec_b64 s[12:13], s[0:1]
	s_cbranch_execz .LBB0_11
; %bb.10:
	v_and_or_b32 v0, v27, s14, v28
	s_mov_b32 s14, 0x5040100
	v_lshlrev_b32_e32 v0, 2, v0
	v_perm_b32 v1, v5, v4, s14
	v_perm_b32 v2, v12, v11, s14
	ds_write2_b32 v0, v1, v2 offset1:2
.LBB0_11:
	s_or_b64 exec, exec, s[12:13]
	v_add_u32_e32 v2, 0xc00, v19
	s_waitcnt lgkmcnt(0)
	s_barrier
	ds_read2_b32 v[0:1], v19 offset1:224
	ds_read2_b32 v[2:3], v2 offset0:16 offset1:240
	ds_read_b32 v13, v19 offset:1792
	ds_read_b32 v7, v19 offset:4928
	s_and_saveexec_b64 s[12:13], s[0:1]
	s_cbranch_execz .LBB0_13
; %bb.12:
	ds_read_b32 v4, v19 offset:2688
	ds_read_b32 v11, v19 offset:5824
	s_waitcnt lgkmcnt(1)
	v_lshrrev_b32_e32 v5, 16, v4
	s_waitcnt lgkmcnt(0)
	v_lshrrev_b32_e32 v12, 16, v11
.LBB0_13:
	s_or_b64 exec, exec, s[12:13]
	v_and_b32_e32 v32, 3, v24
	v_lshlrev_b32_e32 v14, 2, v32
	global_load_dword v38, v14, s[4:5] offset:8
	s_movk_i32 s12, 0x1f8
	s_movk_i32 s14, 0x7f8
	s_waitcnt lgkmcnt(2)
	v_lshrrev_b32_e32 v15, 16, v2
	v_and_or_b32 v40, v6, s12, v32
	v_and_or_b32 v43, v37, s14, v32
	v_lshrrev_b32_e32 v17, 16, v3
	s_waitcnt lgkmcnt(0)
	v_lshrrev_b32_e32 v39, 16, v7
	v_lshlrev_b32_e32 v42, 2, v40
	v_lshlrev_b32_e32 v40, 2, v43
	v_lshrrev_b32_e32 v14, 16, v0
	v_lshrrev_b32_e32 v16, 16, v1
	v_lshrrev_b32_e32 v18, 16, v13
	s_movk_i32 s13, 0x3f8
	v_and_or_b32 v41, v36, s13, v32
	v_lshlrev_b32_e32 v41, 2, v41
	s_waitcnt vmcnt(0)
	s_barrier
	v_mul_f16_sdwa v43, v15, v38 dst_sel:DWORD dst_unused:UNUSED_PAD src0_sel:DWORD src1_sel:WORD_1
	v_mul_f16_sdwa v44, v2, v38 dst_sel:DWORD dst_unused:UNUSED_PAD src0_sel:DWORD src1_sel:WORD_1
	v_mul_f16_sdwa v45, v17, v38 dst_sel:DWORD dst_unused:UNUSED_PAD src0_sel:DWORD src1_sel:WORD_1
	v_mul_f16_sdwa v46, v3, v38 dst_sel:DWORD dst_unused:UNUSED_PAD src0_sel:DWORD src1_sel:WORD_1
	v_mul_f16_sdwa v47, v39, v38 dst_sel:DWORD dst_unused:UNUSED_PAD src0_sel:DWORD src1_sel:WORD_1
	v_mul_f16_sdwa v48, v7, v38 dst_sel:DWORD dst_unused:UNUSED_PAD src0_sel:DWORD src1_sel:WORD_1
	v_mul_f16_sdwa v49, v12, v38 dst_sel:DWORD dst_unused:UNUSED_PAD src0_sel:DWORD src1_sel:WORD_1
	v_mul_f16_sdwa v50, v11, v38 dst_sel:DWORD dst_unused:UNUSED_PAD src0_sel:DWORD src1_sel:WORD_1
	v_fma_f16 v2, v2, v38, -v43
	v_fma_f16 v15, v15, v38, v44
	v_fma_f16 v3, v3, v38, -v45
	v_fma_f16 v17, v17, v38, v46
	;; [unrolled: 2-line block ×4, first 2 shown]
	v_sub_f16_e32 v2, v0, v2
	v_sub_f16_e32 v15, v14, v15
	;; [unrolled: 1-line block ×8, first 2 shown]
	v_fma_f16 v0, v0, 2.0, -v2
	v_fma_f16 v12, v14, 2.0, -v15
	v_fma_f16 v1, v1, 2.0, -v3
	v_fma_f16 v14, v16, 2.0, -v17
	v_fma_f16 v13, v13, 2.0, -v43
	v_fma_f16 v16, v18, 2.0, -v39
	v_fma_f16 v4, v4, 2.0, -v7
	v_fma_f16 v5, v5, 2.0, -v11
	v_pack_b32_f16 v2, v2, v15
	v_pack_b32_f16 v0, v0, v12
	v_pack_b32_f16 v3, v3, v17
	v_pack_b32_f16 v15, v43, v39
	v_pack_b32_f16 v1, v1, v14
	v_pack_b32_f16 v12, v13, v16
	ds_write2_b32 v42, v0, v2 offset1:4
	ds_write2_b32 v41, v1, v3 offset1:4
	;; [unrolled: 1-line block ×3, first 2 shown]
	s_and_saveexec_b64 s[12:13], s[0:1]
	s_cbranch_execz .LBB0_15
; %bb.14:
	v_and_or_b32 v0, v27, s14, v32
	s_mov_b32 s14, 0x5040100
	v_lshlrev_b32_e32 v0, 2, v0
	v_perm_b32 v1, v5, v4, s14
	v_perm_b32 v2, v11, v7, s14
	ds_write2_b32 v0, v1, v2 offset1:4
.LBB0_15:
	s_or_b64 exec, exec, s[12:13]
	v_add_u32_e32 v2, 0xc00, v19
	s_waitcnt lgkmcnt(0)
	s_barrier
	ds_read2_b32 v[0:1], v19 offset1:224
	ds_read2_b32 v[2:3], v2 offset0:16 offset1:240
	ds_read_b32 v12, v19 offset:1792
	ds_read_b32 v13, v19 offset:4928
	s_and_saveexec_b64 s[12:13], s[0:1]
	s_cbranch_execz .LBB0_17
; %bb.16:
	ds_read_b32 v4, v19 offset:2688
	ds_read_b32 v7, v19 offset:5824
	s_waitcnt lgkmcnt(1)
	v_lshrrev_b32_e32 v5, 16, v4
	s_waitcnt lgkmcnt(0)
	v_lshrrev_b32_e32 v11, 16, v7
.LBB0_17:
	s_or_b64 exec, exec, s[12:13]
	v_and_b32_e32 v39, 7, v24
	v_lshlrev_b32_e32 v14, 2, v39
	global_load_dword v43, v14, s[4:5] offset:24
	s_movk_i32 s12, 0x1f0
	s_movk_i32 s13, 0x3f0
	;; [unrolled: 1-line block ×3, first 2 shown]
	s_waitcnt lgkmcnt(2)
	v_lshrrev_b32_e32 v15, 16, v2
	v_and_or_b32 v45, v6, s12, v39
	v_and_or_b32 v46, v36, s13, v39
	;; [unrolled: 1-line block ×3, first 2 shown]
	v_lshrrev_b32_e32 v17, 16, v3
	s_waitcnt lgkmcnt(0)
	v_lshrrev_b32_e32 v44, 16, v13
	v_lshlrev_b32_e32 v48, 2, v45
	v_lshlrev_b32_e32 v47, 2, v46
	;; [unrolled: 1-line block ×3, first 2 shown]
	v_lshrrev_b32_e32 v14, 16, v0
	v_lshrrev_b32_e32 v16, 16, v1
	;; [unrolled: 1-line block ×3, first 2 shown]
	s_waitcnt vmcnt(0)
	s_barrier
	v_mul_f16_sdwa v45, v15, v43 dst_sel:DWORD dst_unused:UNUSED_PAD src0_sel:DWORD src1_sel:WORD_1
	v_mul_f16_sdwa v49, v2, v43 dst_sel:DWORD dst_unused:UNUSED_PAD src0_sel:DWORD src1_sel:WORD_1
	;; [unrolled: 1-line block ×8, first 2 shown]
	v_fma_f16 v2, v2, v43, -v45
	v_fma_f16 v15, v15, v43, v49
	v_fma_f16 v3, v3, v43, -v50
	v_fma_f16 v17, v17, v43, v51
	;; [unrolled: 2-line block ×4, first 2 shown]
	v_sub_f16_e32 v2, v0, v2
	v_sub_f16_e32 v15, v14, v15
	;; [unrolled: 1-line block ×8, first 2 shown]
	v_fma_f16 v0, v0, 2.0, -v2
	v_fma_f16 v14, v14, 2.0, -v15
	;; [unrolled: 1-line block ×8, first 2 shown]
	v_pack_b32_f16 v2, v2, v15
	v_pack_b32_f16 v0, v0, v14
	;; [unrolled: 1-line block ×6, first 2 shown]
	ds_write2_b32 v48, v0, v2 offset1:8
	ds_write2_b32 v47, v1, v3 offset1:8
	;; [unrolled: 1-line block ×3, first 2 shown]
	s_and_saveexec_b64 s[12:13], s[0:1]
	s_cbranch_execz .LBB0_19
; %bb.18:
	v_and_or_b32 v0, v27, s14, v39
	s_mov_b32 s14, 0x5040100
	v_lshlrev_b32_e32 v0, 2, v0
	v_perm_b32 v1, v5, v4, s14
	v_perm_b32 v2, v11, v7, s14
	ds_write2_b32 v0, v1, v2 offset1:8
.LBB0_19:
	s_or_b64 exec, exec, s[12:13]
	v_add_u32_e32 v2, 0xc00, v19
	s_waitcnt lgkmcnt(0)
	s_barrier
	ds_read2_b32 v[0:1], v19 offset1:224
	ds_read2_b32 v[2:3], v2 offset0:16 offset1:240
	ds_read_b32 v12, v19 offset:1792
	ds_read_b32 v13, v19 offset:4928
	s_and_saveexec_b64 s[12:13], s[0:1]
	s_cbranch_execz .LBB0_21
; %bb.20:
	ds_read_b32 v4, v19 offset:2688
	ds_read_b32 v7, v19 offset:5824
	s_waitcnt lgkmcnt(1)
	v_lshrrev_b32_e32 v5, 16, v4
	s_waitcnt lgkmcnt(0)
	v_lshrrev_b32_e32 v11, 16, v7
.LBB0_21:
	s_or_b64 exec, exec, s[12:13]
	v_and_b32_e32 v44, 15, v24
	v_lshlrev_b32_e32 v14, 2, v44
	global_load_dword v45, v14, s[4:5] offset:56
	s_movk_i32 s12, 0x1e0
	s_movk_i32 s13, 0x3e0
	;; [unrolled: 1-line block ×3, first 2 shown]
	s_waitcnt lgkmcnt(2)
	v_lshrrev_b32_e32 v15, 16, v2
	v_and_or_b32 v6, v6, s12, v44
	v_and_or_b32 v49, v36, s13, v44
	;; [unrolled: 1-line block ×3, first 2 shown]
	v_lshrrev_b32_e32 v17, 16, v3
	s_waitcnt lgkmcnt(0)
	v_lshrrev_b32_e32 v52, 16, v13
	v_lshlrev_b32_e32 v51, 2, v6
	v_lshlrev_b32_e32 v50, 2, v49
	;; [unrolled: 1-line block ×3, first 2 shown]
	v_lshrrev_b32_e32 v14, 16, v0
	v_lshrrev_b32_e32 v16, 16, v1
	;; [unrolled: 1-line block ×3, first 2 shown]
	s_waitcnt vmcnt(0)
	s_barrier
	v_mul_f16_sdwa v6, v15, v45 dst_sel:DWORD dst_unused:UNUSED_PAD src0_sel:DWORD src1_sel:WORD_1
	v_mul_f16_sdwa v53, v2, v45 dst_sel:DWORD dst_unused:UNUSED_PAD src0_sel:DWORD src1_sel:WORD_1
	;; [unrolled: 1-line block ×7, first 2 shown]
	v_fma_f16 v2, v2, v45, -v6
	v_fma_f16 v6, v15, v45, v53
	v_mul_f16_sdwa v59, v7, v45 dst_sel:DWORD dst_unused:UNUSED_PAD src0_sel:DWORD src1_sel:WORD_1
	v_fma_f16 v3, v3, v45, -v54
	v_fma_f16 v15, v17, v45, v55
	v_fma_f16 v13, v13, v45, -v56
	v_fma_f16 v17, v52, v45, v57
	v_fma_f16 v7, v7, v45, -v58
	v_sub_f16_e32 v2, v0, v2
	v_sub_f16_e32 v6, v14, v6
	v_fma_f16 v11, v11, v45, v59
	v_sub_f16_e32 v3, v1, v3
	v_sub_f16_e32 v15, v16, v15
	v_sub_f16_e32 v13, v12, v13
	v_sub_f16_e32 v17, v18, v17
	v_sub_f16_e32 v53, v4, v7
	v_fma_f16 v0, v0, 2.0, -v2
	v_fma_f16 v7, v14, 2.0, -v6
	v_sub_f16_e32 v54, v5, v11
	v_fma_f16 v1, v1, 2.0, -v3
	v_fma_f16 v11, v16, 2.0, -v15
	;; [unrolled: 1-line block ×4, first 2 shown]
	v_pack_b32_f16 v2, v2, v6
	v_pack_b32_f16 v0, v0, v7
	;; [unrolled: 1-line block ×6, first 2 shown]
	ds_write2_b32 v51, v0, v2 offset1:16
	ds_write2_b32 v50, v1, v3 offset1:16
	;; [unrolled: 1-line block ×3, first 2 shown]
	s_and_saveexec_b64 s[12:13], s[0:1]
	s_cbranch_execz .LBB0_23
; %bb.22:
	v_fma_f16 v0, v4, 2.0, -v53
	v_fma_f16 v1, v5, 2.0, -v54
	v_and_or_b32 v2, v27, s14, v44
	s_mov_b32 s14, 0x5040100
	v_lshlrev_b32_e32 v2, 2, v2
	v_pack_b32_f16 v0, v0, v1
	v_perm_b32 v1, v54, v53, s14
	ds_write2_b32 v2, v0, v1 offset1:16
.LBB0_23:
	s_or_b64 exec, exec, s[12:13]
	v_and_b32_e32 v15, 31, v24
	v_mad_u64_u32 v[4:5], s[12:13], v15, 24, s[4:5]
	s_waitcnt lgkmcnt(0)
	s_barrier
	global_load_dwordx4 v[0:3], v[4:5], off offset:120
	global_load_dwordx2 v[11:12], v[4:5], off offset:136
	v_add_u32_e32 v57, 0x700, v19
	v_add_u32_e32 v58, 0xe00, v19
	ds_read2_b32 v[4:5], v19 offset1:224
	ds_read_b32 v16, v19 offset:5376
	ds_read2_b32 v[6:7], v57 offset1:224
	ds_read2_b32 v[13:14], v58 offset1:224
	s_movk_i32 s13, 0x2b26
	s_waitcnt lgkmcnt(3)
	v_lshrrev_b32_e32 v17, 16, v5
	s_waitcnt lgkmcnt(2)
	v_lshrrev_b32_e32 v18, 16, v16
	;; [unrolled: 2-line block ×4, first 2 shown]
	v_lshrrev_b32_e32 v55, 16, v7
	v_lshrrev_b32_e32 v56, 16, v13
	s_movk_i32 s12, 0x3b00
	s_mov_b32 s14, 0xbcab
	s_movk_i32 s15, 0x39e0
	s_mov_b32 s16, 0xb9e0
	;; [unrolled: 2-line block ×3, first 2 shown]
	s_movk_i32 s20, 0x370e
	s_waitcnt vmcnt(0)
	s_barrier
	v_mul_f16_sdwa v60, v17, v0 dst_sel:DWORD dst_unused:UNUSED_PAD src0_sel:DWORD src1_sel:WORD_1
	v_mul_f16_sdwa v61, v5, v0 dst_sel:DWORD dst_unused:UNUSED_PAD src0_sel:DWORD src1_sel:WORD_1
	;; [unrolled: 1-line block ×12, first 2 shown]
	v_fma_f16 v5, v5, v0, -v60
	v_fma_f16 v17, v17, v0, v61
	v_fma_f16 v6, v6, v1, -v62
	v_fma_f16 v14, v14, v11, -v68
	;; [unrolled: 1-line block ×3, first 2 shown]
	v_fma_f16 v18, v18, v12, v71
	v_fma_f16 v52, v52, v1, v63
	v_fma_f16 v7, v7, v2, -v64
	v_fma_f16 v55, v55, v2, v65
	v_fma_f16 v13, v13, v3, -v66
	v_fma_f16 v56, v56, v3, v67
	v_fma_f16 v59, v59, v11, v69
	v_add_f16_e32 v60, v5, v16
	v_add_f16_e32 v61, v17, v18
	v_sub_f16_e32 v5, v5, v16
	v_sub_f16_e32 v16, v17, v18
	v_add_f16_e32 v17, v6, v14
	v_add_f16_e32 v18, v52, v59
	v_sub_f16_e32 v6, v6, v14
	v_sub_f16_e32 v14, v52, v59
	v_add_f16_e32 v52, v7, v13
	v_add_f16_e32 v59, v55, v56
	v_sub_f16_e32 v7, v13, v7
	v_sub_f16_e32 v13, v56, v55
	v_add_f16_e32 v55, v17, v60
	v_add_f16_e32 v56, v18, v61
	v_sub_f16_e32 v62, v17, v60
	v_sub_f16_e32 v63, v18, v61
	v_sub_f16_e32 v60, v60, v52
	v_sub_f16_e32 v61, v61, v59
	;; [unrolled: 1-line block ×4, first 2 shown]
	v_add_f16_e32 v64, v7, v6
	v_add_f16_e32 v65, v13, v14
	v_sub_f16_e32 v66, v7, v6
	v_sub_f16_e32 v67, v13, v14
	;; [unrolled: 1-line block ×4, first 2 shown]
	v_add_f16_e32 v52, v52, v55
	v_sub_f16_e32 v7, v5, v7
	v_sub_f16_e32 v13, v16, v13
	v_add_f16_e32 v55, v59, v56
	v_add_f16_e32 v5, v64, v5
	;; [unrolled: 1-line block ×3, first 2 shown]
	v_mul_f16_e32 v56, 0x3a52, v60
	v_mul_f16_e32 v59, 0x3a52, v61
	;; [unrolled: 1-line block ×8, first 2 shown]
	v_add_f16_e32 v68, v4, v52
	v_fma_f16 v17, v17, s13, v56
	v_fma_f16 v52, v52, s14, v68
	;; [unrolled: 1-line block ×3, first 2 shown]
	v_fma_f16 v60, v62, s15, -v60
	v_fma_f16 v61, v63, s15, -v61
	;; [unrolled: 1-line block ×4, first 2 shown]
	v_fma_f16 v62, v7, s18, v64
	v_fma_f16 v63, v13, s18, v65
	v_fma_f16 v6, v6, s12, -v64
	v_fma_f16 v7, v7, s19, -v66
	;; [unrolled: 1-line block ×3, first 2 shown]
	v_add_f16_sdwa v4, v4, v55 dst_sel:DWORD dst_unused:UNUSED_PAD src0_sel:WORD_1 src1_sel:DWORD
	v_add_f16_e32 v17, v17, v52
	v_add_f16_e32 v60, v60, v52
	;; [unrolled: 1-line block ×3, first 2 shown]
	v_fma_f16 v56, v5, s20, v62
	v_fma_f16 v6, v5, s20, v6
	v_fma_f16 v5, v5, s20, v7
	v_fma_f16 v7, v16, s20, v13
	v_fma_f16 v55, v55, s14, v4
	v_add_f16_e32 v62, v7, v52
	v_sub_f16_e32 v7, v52, v7
	v_lshrrev_b32_e32 v52, 5, v24
	v_fma_f16 v14, v14, s12, -v65
	v_add_f16_e32 v18, v18, v55
	v_add_f16_e32 v61, v61, v55
	;; [unrolled: 1-line block ×3, first 2 shown]
	v_fma_f16 v59, v16, s20, v63
	v_mul_u32_u24_e32 v52, 0xe0, v52
	v_fma_f16 v14, v16, s20, v14
	v_add_f16_e32 v13, v59, v17
	v_sub_f16_e32 v16, v18, v56
	v_or_b32_e32 v15, v52, v15
	v_sub_f16_e32 v63, v55, v5
	v_sub_f16_e32 v64, v60, v14
	v_add_f16_e32 v65, v6, v61
	v_lshlrev_b32_e32 v52, 2, v15
	v_pack_b32_f16 v4, v68, v4
	v_pack_b32_f16 v13, v13, v16
	v_mad_u64_u32 v[15:16], s[4:5], v24, 24, s[4:5]
	v_add_f16_e32 v14, v14, v60
	v_sub_f16_e32 v6, v61, v6
	v_add_f16_e32 v5, v5, v55
	ds_write2_b32 v52, v4, v13 offset1:32
	v_pack_b32_f16 v4, v62, v63
	v_pack_b32_f16 v13, v64, v65
	v_sub_f16_e32 v17, v17, v59
	v_add_f16_e32 v18, v56, v18
	ds_write2_b32 v52, v4, v13 offset0:64 offset1:96
	v_pack_b32_f16 v4, v14, v6
	v_pack_b32_f16 v5, v7, v5
	ds_write2_b32 v52, v4, v5 offset0:128 offset1:160
	v_pack_b32_f16 v4, v17, v18
	ds_write_b32 v52, v4 offset:768
	s_waitcnt lgkmcnt(0)
	s_barrier
	global_load_dwordx4 v[4:7], v[15:16], off offset:888
	global_load_dwordx2 v[13:14], v[15:16], off offset:904
	ds_read2_b32 v[15:16], v19 offset1:224
	ds_read2_b32 v[17:18], v57 offset1:224
	v_mov_b32_e32 v55, s17
	v_addc_co_u32_e64 v59, vcc, 0, v55, s[2:3]
	ds_read2_b32 v[55:56], v58 offset1:224
	ds_read_b32 v60, v19 offset:5376
	s_waitcnt lgkmcnt(3)
	v_lshrrev_b32_e32 v61, 16, v16
	s_waitcnt lgkmcnt(2)
	v_lshrrev_b32_e32 v63, 16, v18
	v_lshrrev_b32_e32 v62, 16, v17
	s_waitcnt lgkmcnt(1)
	v_lshrrev_b32_e32 v64, 16, v55
	;; [unrolled: 3-line block ×3, first 2 shown]
	s_movk_i32 s2, 0x1000
	s_waitcnt vmcnt(1)
	v_mul_f16_sdwa v67, v61, v4 dst_sel:DWORD dst_unused:UNUSED_PAD src0_sel:DWORD src1_sel:WORD_1
	v_mul_f16_sdwa v68, v16, v4 dst_sel:DWORD dst_unused:UNUSED_PAD src0_sel:DWORD src1_sel:WORD_1
	v_fma_f16 v16, v16, v4, -v67
	v_mul_f16_sdwa v67, v63, v6 dst_sel:DWORD dst_unused:UNUSED_PAD src0_sel:DWORD src1_sel:WORD_1
	v_fma_f16 v67, v18, v6, -v67
	v_mul_f16_sdwa v18, v18, v6 dst_sel:DWORD dst_unused:UNUSED_PAD src0_sel:DWORD src1_sel:WORD_1
	v_fma_f16 v18, v63, v6, v18
	v_mul_f16_sdwa v63, v64, v7 dst_sel:DWORD dst_unused:UNUSED_PAD src0_sel:DWORD src1_sel:WORD_1
	v_fma_f16 v63, v55, v7, -v63
	v_mul_f16_sdwa v55, v55, v7 dst_sel:DWORD dst_unused:UNUSED_PAD src0_sel:DWORD src1_sel:WORD_1
	v_fma_f16 v55, v64, v7, v55
	s_waitcnt vmcnt(0)
	v_mul_f16_sdwa v64, v65, v13 dst_sel:DWORD dst_unused:UNUSED_PAD src0_sel:DWORD src1_sel:WORD_1
	v_fma_f16 v64, v56, v13, -v64
	v_mul_f16_sdwa v56, v56, v13 dst_sel:DWORD dst_unused:UNUSED_PAD src0_sel:DWORD src1_sel:WORD_1
	v_fma_f16 v56, v65, v13, v56
	v_mul_f16_sdwa v65, v66, v14 dst_sel:DWORD dst_unused:UNUSED_PAD src0_sel:DWORD src1_sel:WORD_1
	v_mul_f16_sdwa v69, v62, v5 dst_sel:DWORD dst_unused:UNUSED_PAD src0_sel:DWORD src1_sel:WORD_1
	v_mul_f16_sdwa v70, v17, v5 dst_sel:DWORD dst_unused:UNUSED_PAD src0_sel:DWORD src1_sel:WORD_1
	v_fma_f16 v65, v60, v14, -v65
	v_mul_f16_sdwa v60, v60, v14 dst_sel:DWORD dst_unused:UNUSED_PAD src0_sel:DWORD src1_sel:WORD_1
	v_fma_f16 v61, v61, v4, v68
	v_fma_f16 v17, v17, v5, -v69
	v_fma_f16 v62, v62, v5, v70
	v_fma_f16 v60, v66, v14, v60
	v_add_f16_e32 v66, v16, v65
	v_add_f16_e32 v68, v61, v60
	v_sub_f16_e32 v16, v16, v65
	v_sub_f16_e32 v60, v61, v60
	v_add_f16_e32 v61, v17, v64
	v_add_f16_e32 v65, v62, v56
	v_sub_f16_e32 v17, v17, v64
	v_sub_f16_e32 v56, v62, v56
	;; [unrolled: 4-line block ×4, first 2 shown]
	v_sub_f16_e32 v66, v66, v62
	v_sub_f16_e32 v68, v68, v64
	;; [unrolled: 1-line block ×4, first 2 shown]
	v_add_f16_e32 v71, v63, v17
	v_add_f16_e32 v72, v18, v56
	v_sub_f16_e32 v73, v63, v17
	v_sub_f16_e32 v74, v18, v56
	v_add_f16_e32 v55, v62, v55
	v_add_f16_e32 v62, v64, v67
	v_sub_f16_e32 v63, v16, v63
	v_sub_f16_e32 v18, v60, v18
	;; [unrolled: 1-line block ×4, first 2 shown]
	v_add_f16_e32 v16, v71, v16
	v_add_f16_e32 v60, v72, v60
	;; [unrolled: 1-line block ×3, first 2 shown]
	v_add_f16_sdwa v15, v15, v62 dst_sel:DWORD dst_unused:UNUSED_PAD src0_sel:WORD_1 src1_sel:DWORD
	v_mul_f16_e32 v66, 0x3a52, v66
	v_mul_f16_e32 v67, 0x3a52, v68
	;; [unrolled: 1-line block ×8, first 2 shown]
	v_fma_f16 v55, v55, s14, v64
	v_fma_f16 v62, v62, s14, v15
	;; [unrolled: 1-line block ×4, first 2 shown]
	v_fma_f16 v68, v69, s15, -v68
	v_fma_f16 v71, v70, s15, -v71
	;; [unrolled: 1-line block ×4, first 2 shown]
	v_fma_f16 v69, v63, s18, v72
	v_fma_f16 v70, v18, s18, v73
	v_fma_f16 v17, v17, s12, -v72
	v_fma_f16 v56, v56, s12, -v73
	;; [unrolled: 1-line block ×4, first 2 shown]
	v_add_f16_e32 v61, v61, v55
	v_add_f16_e32 v65, v65, v62
	;; [unrolled: 1-line block ×6, first 2 shown]
	v_fma_f16 v66, v16, s20, v69
	v_fma_f16 v67, v60, s20, v70
	;; [unrolled: 1-line block ×6, first 2 shown]
	v_add_f16_e32 v60, v67, v61
	v_sub_f16_e32 v63, v65, v66
	v_add_f16_e32 v69, v18, v55
	v_sub_f16_e32 v70, v62, v16
	v_sub_f16_e32 v72, v68, v56
	v_add_f16_e32 v73, v17, v71
	v_pack_b32_f16 v15, v64, v15
	v_pack_b32_f16 v60, v60, v63
	v_add_f16_e32 v68, v56, v68
	v_sub_f16_e32 v17, v71, v17
	v_sub_f16_e32 v18, v55, v18
	v_add_f16_e32 v16, v16, v62
	ds_write2_b32 v19, v15, v60 offset1:224
	v_pack_b32_f16 v15, v69, v70
	v_pack_b32_f16 v60, v72, v73
	v_sub_f16_e32 v55, v61, v67
	v_add_f16_e32 v56, v66, v65
	ds_write2_b32 v57, v15, v60 offset1:224
	v_pack_b32_f16 v15, v68, v17
	v_pack_b32_f16 v16, v18, v16
	ds_write2_b32 v58, v15, v16 offset1:224
	v_pack_b32_f16 v15, v55, v56
	ds_write_b32 v19, v15 offset:5376
	v_add_co_u32_e32 v15, vcc, s2, v8
	v_addc_co_u32_e32 v16, vcc, 0, v59, vcc
	s_waitcnt lgkmcnt(0)
	s_barrier
	global_load_dword v57, v[15:16], off offset:2176
	s_movk_i32 s2, 0x1880
	v_add_co_u32_e32 v15, vcc, s2, v8
	v_addc_co_u32_e32 v16, vcc, 0, v59, vcc
	global_load_dword v60, v[15:16], off offset:3136
	global_load_dword v61, v[15:16], off offset:896
	;; [unrolled: 1-line block ×4, first 2 shown]
	v_add_co_u32_e32 v17, vcc, 0x2000, v8
	v_addc_co_u32_e32 v18, vcc, 0, v59, vcc
	global_load_dword v59, v[17:18], off offset:3008
	ds_read2_b32 v[17:18], v19 offset1:224
	s_waitcnt lgkmcnt(0)
	v_lshrrev_b32_e32 v58, 16, v17
	s_waitcnt vmcnt(5)
	v_mul_f16_sdwa v64, v58, v57 dst_sel:DWORD dst_unused:UNUSED_PAD src0_sel:DWORD src1_sel:WORD_1
	v_fma_f16 v64, v17, v57, -v64
	v_mul_f16_sdwa v17, v17, v57 dst_sel:DWORD dst_unused:UNUSED_PAD src0_sel:DWORD src1_sel:WORD_1
	v_fma_f16 v17, v58, v57, v17
	v_pack_b32_f16 v17, v64, v17
	ds_write_b32 v19, v17
	v_add_u32_e32 v17, 0xc00, v19
	ds_read2_b32 v[57:58], v17 offset0:16 offset1:240
	s_waitcnt lgkmcnt(0)
	v_lshrrev_b32_e32 v64, 16, v57
	s_waitcnt vmcnt(4)
	v_mul_f16_sdwa v65, v64, v60 dst_sel:DWORD dst_unused:UNUSED_PAD src0_sel:DWORD src1_sel:WORD_1
	v_fma_f16 v65, v57, v60, -v65
	v_mul_f16_sdwa v57, v57, v60 dst_sel:DWORD dst_unused:UNUSED_PAD src0_sel:DWORD src1_sel:WORD_1
	v_fma_f16 v57, v64, v60, v57
	v_lshrrev_b32_e32 v60, 16, v18
	s_waitcnt vmcnt(3)
	v_mul_f16_sdwa v64, v60, v61 dst_sel:DWORD dst_unused:UNUSED_PAD src0_sel:DWORD src1_sel:WORD_1
	v_fma_f16 v64, v18, v61, -v64
	v_mul_f16_sdwa v18, v18, v61 dst_sel:DWORD dst_unused:UNUSED_PAD src0_sel:DWORD src1_sel:WORD_1
	v_fma_f16 v18, v60, v61, v18
	v_lshrrev_b32_e32 v60, 16, v58
	v_pack_b32_f16 v18, v64, v18
	s_waitcnt vmcnt(2)
	v_mul_f16_sdwa v61, v60, v62 dst_sel:DWORD dst_unused:UNUSED_PAD src0_sel:DWORD src1_sel:WORD_1
	ds_read_b32 v64, v19 offset:1792
	v_fma_f16 v61, v58, v62, -v61
	v_mul_f16_sdwa v58, v58, v62 dst_sel:DWORD dst_unused:UNUSED_PAD src0_sel:DWORD src1_sel:WORD_1
	v_fma_f16 v58, v60, v62, v58
	v_pack_b32_f16 v57, v65, v57
	v_pack_b32_f16 v58, v61, v58
	ds_write2_b32 v17, v57, v58 offset0:16 offset1:240
	ds_read_b32 v57, v19 offset:4928
	s_waitcnt lgkmcnt(2)
	v_lshrrev_b32_e32 v58, 16, v64
	s_waitcnt vmcnt(1)
	v_mul_f16_sdwa v60, v58, v63 dst_sel:DWORD dst_unused:UNUSED_PAD src0_sel:DWORD src1_sel:WORD_1
	v_mul_f16_sdwa v61, v64, v63 dst_sel:DWORD dst_unused:UNUSED_PAD src0_sel:DWORD src1_sel:WORD_1
	v_fma_f16 v60, v64, v63, -v60
	v_fma_f16 v58, v58, v63, v61
	v_pack_b32_f16 v58, v60, v58
	v_add_u32_e32 v60, 0x380, v19
	ds_write2_b32 v60, v18, v58 offset1:224
	s_waitcnt lgkmcnt(1)
	v_lshrrev_b32_e32 v18, 16, v57
	s_waitcnt vmcnt(0)
	v_mul_f16_sdwa v58, v18, v59 dst_sel:DWORD dst_unused:UNUSED_PAD src0_sel:DWORD src1_sel:WORD_1
	v_fma_f16 v58, v57, v59, -v58
	v_mul_f16_sdwa v57, v57, v59 dst_sel:DWORD dst_unused:UNUSED_PAD src0_sel:DWORD src1_sel:WORD_1
	v_fma_f16 v18, v18, v59, v57
	v_pack_b32_f16 v18, v58, v18
	ds_write_b32 v19, v18 offset:4928
	s_and_saveexec_b64 s[2:3], s[0:1]
	s_cbranch_execz .LBB0_25
; %bb.24:
	global_load_dword v18, v[15:16], off offset:2688
	v_add_co_u32_e32 v15, vcc, 0x1000, v15
	v_addc_co_u32_e32 v16, vcc, 0, v16, vcc
	global_load_dword v15, v[15:16], off offset:1728
	ds_read_b32 v16, v19 offset:2688
	ds_read_b32 v57, v19 offset:5824
	s_waitcnt lgkmcnt(1)
	v_lshrrev_b32_e32 v58, 16, v16
	s_waitcnt lgkmcnt(0)
	v_lshrrev_b32_e32 v59, 16, v57
	s_waitcnt vmcnt(1)
	v_mul_f16_sdwa v60, v58, v18 dst_sel:DWORD dst_unused:UNUSED_PAD src0_sel:DWORD src1_sel:WORD_1
	v_mul_f16_sdwa v61, v16, v18 dst_sel:DWORD dst_unused:UNUSED_PAD src0_sel:DWORD src1_sel:WORD_1
	v_fma_f16 v16, v16, v18, -v60
	v_fma_f16 v18, v58, v18, v61
	v_pack_b32_f16 v16, v16, v18
	s_waitcnt vmcnt(0)
	v_mul_f16_sdwa v18, v59, v15 dst_sel:DWORD dst_unused:UNUSED_PAD src0_sel:DWORD src1_sel:WORD_1
	v_mul_f16_sdwa v58, v57, v15 dst_sel:DWORD dst_unused:UNUSED_PAD src0_sel:DWORD src1_sel:WORD_1
	ds_write_b32 v19, v16 offset:2688
	v_fma_f16 v16, v57, v15, -v18
	v_fma_f16 v15, v59, v15, v58
	v_pack_b32_f16 v15, v16, v15
	ds_write_b32 v19, v15 offset:5824
.LBB0_25:
	s_or_b64 exec, exec, s[2:3]
	s_waitcnt lgkmcnt(0)
	s_barrier
	ds_read2_b32 v[15:16], v19 offset1:224
	ds_read2_b32 v[17:18], v17 offset0:16 offset1:240
	ds_read_b32 v58, v19 offset:1792
	ds_read_b32 v60, v19 offset:4928
	v_lshlrev_b32_e32 v59, 2, v36
	v_lshlrev_b32_e32 v57, 2, v37
	s_and_saveexec_b64 s[2:3], s[0:1]
	s_cbranch_execz .LBB0_27
; %bb.26:
	ds_read_b32 v55, v19 offset:2688
	ds_read_b32 v53, v19 offset:5824
	s_waitcnt lgkmcnt(1)
	v_lshrrev_b32_e32 v56, 16, v55
	s_waitcnt lgkmcnt(0)
	v_lshrrev_b32_e32 v54, 16, v53
.LBB0_27:
	s_or_b64 exec, exec, s[2:3]
	s_waitcnt lgkmcnt(2)
	v_pk_add_f16 v61, v15, v17 neg_lo:[0,1] neg_hi:[0,1]
	v_pk_add_f16 v17, v16, v18 neg_lo:[0,1] neg_hi:[0,1]
	s_waitcnt lgkmcnt(0)
	v_pk_add_f16 v18, v58, v60 neg_lo:[0,1] neg_hi:[0,1]
	v_sub_f16_e32 v53, v55, v53
	v_sub_f16_e32 v54, v56, v54
	v_pk_fma_f16 v60, v15, 2.0, v61 op_sel_hi:[1,0,1] neg_lo:[0,0,1] neg_hi:[0,0,1]
	v_pk_fma_f16 v16, v16, 2.0, v17 op_sel_hi:[1,0,1] neg_lo:[0,0,1] neg_hi:[0,0,1]
	v_fma_f16 v36, v55, 2.0, -v53
	v_fma_f16 v37, v56, 2.0, -v54
	s_barrier
	ds_write_b64 v31, v[60:61]
	ds_write_b64 v59, v[16:17]
	v_pk_fma_f16 v17, v58, 2.0, v18 op_sel_hi:[1,0,1] neg_lo:[0,0,1] neg_hi:[0,0,1]
	ds_write_b64 v57, v[17:18]
	s_and_saveexec_b64 s[2:3], s[0:1]
	s_cbranch_execz .LBB0_29
; %bb.28:
	s_mov_b32 s4, 0x5040100
	v_perm_b32 v16, v54, v53, s4
	v_perm_b32 v15, v37, v36, s4
	ds_write_b64 v30, v[15:16]
.LBB0_29:
	s_or_b64 exec, exec, s[2:3]
	v_add_u32_e32 v17, 0xc00, v19
	s_waitcnt lgkmcnt(0)
	s_barrier
	ds_read2_b32 v[15:16], v19 offset1:224
	ds_read2_b32 v[17:18], v17 offset0:16 offset1:240
	ds_read_b32 v30, v19 offset:1792
	ds_read_b32 v31, v19 offset:4928
	s_and_saveexec_b64 s[2:3], s[0:1]
	s_cbranch_execz .LBB0_31
; %bb.30:
	ds_read_b32 v36, v19 offset:2688
	ds_read_b32 v53, v19 offset:5824
	s_waitcnt lgkmcnt(1)
	v_lshrrev_b32_e32 v37, 16, v36
	s_waitcnt lgkmcnt(0)
	v_lshrrev_b32_e32 v54, 16, v53
.LBB0_31:
	s_or_b64 exec, exec, s[2:3]
	s_waitcnt lgkmcnt(2)
	v_lshrrev_b32_e32 v56, 16, v17
	v_mul_f16_sdwa v61, v29, v56 dst_sel:DWORD dst_unused:UNUSED_PAD src0_sel:WORD_1 src1_sel:DWORD
	v_lshrrev_b32_e32 v58, 16, v18
	v_fma_f16 v61, v29, v17, v61
	v_mul_f16_sdwa v17, v29, v17 dst_sel:DWORD dst_unused:UNUSED_PAD src0_sel:WORD_1 src1_sel:DWORD
	v_fma_f16 v17, v29, v56, -v17
	v_mul_f16_sdwa v56, v29, v58 dst_sel:DWORD dst_unused:UNUSED_PAD src0_sel:WORD_1 src1_sel:DWORD
	s_waitcnt lgkmcnt(0)
	v_lshrrev_b32_e32 v60, 16, v31
	v_fma_f16 v56, v29, v18, v56
	v_mul_f16_sdwa v18, v29, v18 dst_sel:DWORD dst_unused:UNUSED_PAD src0_sel:WORD_1 src1_sel:DWORD
	v_fma_f16 v18, v29, v58, -v18
	v_mul_f16_sdwa v58, v29, v60 dst_sel:DWORD dst_unused:UNUSED_PAD src0_sel:WORD_1 src1_sel:DWORD
	v_fma_f16 v58, v29, v31, v58
	v_mul_f16_sdwa v31, v29, v31 dst_sel:DWORD dst_unused:UNUSED_PAD src0_sel:WORD_1 src1_sel:DWORD
	v_fma_f16 v31, v29, v60, -v31
	v_mul_f16_sdwa v60, v29, v54 dst_sel:DWORD dst_unused:UNUSED_PAD src0_sel:WORD_1 src1_sel:DWORD
	v_lshrrev_b32_e32 v55, 16, v15
	v_fma_f16 v60, v29, v53, v60
	v_mul_f16_sdwa v53, v29, v53 dst_sel:DWORD dst_unused:UNUSED_PAD src0_sel:WORD_1 src1_sel:DWORD
	v_lshrrev_b32_e32 v57, 16, v16
	v_fma_f16 v29, v29, v54, -v53
	v_sub_f16_e32 v54, v15, v61
	v_sub_f16_e32 v17, v55, v17
	v_lshrrev_b32_e32 v59, 16, v30
	v_fma_f16 v15, v15, 2.0, -v54
	v_fma_f16 v55, v55, 2.0, -v17
	v_sub_f16_e32 v56, v16, v56
	v_sub_f16_e32 v18, v57, v18
	v_fma_f16 v16, v16, 2.0, -v56
	v_fma_f16 v57, v57, 2.0, -v18
	v_sub_f16_e32 v58, v30, v58
	v_sub_f16_e32 v61, v59, v31
	v_pack_b32_f16 v15, v15, v55
	v_pack_b32_f16 v17, v54, v17
	v_fma_f16 v62, v30, 2.0, -v58
	v_fma_f16 v59, v59, 2.0, -v61
	v_sub_f16_e32 v31, v36, v60
	v_sub_f16_e32 v53, v37, v29
	s_barrier
	ds_write2_b32 v35, v15, v17 offset1:2
	v_pack_b32_f16 v15, v16, v57
	v_pack_b32_f16 v16, v56, v18
	v_fma_f16 v29, v36, 2.0, -v31
	v_fma_f16 v30, v37, 2.0, -v53
	ds_write2_b32 v34, v15, v16 offset1:2
	v_pack_b32_f16 v15, v62, v59
	v_pack_b32_f16 v16, v58, v61
	ds_write2_b32 v33, v15, v16 offset1:2
	s_and_saveexec_b64 s[2:3], s[0:1]
	s_cbranch_execz .LBB0_33
; %bb.32:
	s_movk_i32 s4, 0x7fc
	v_and_or_b32 v15, v27, s4, v28
	s_mov_b32 s4, 0x5040100
	v_lshlrev_b32_e32 v15, 2, v15
	v_perm_b32 v16, v30, v29, s4
	v_perm_b32 v17, v53, v31, s4
	ds_write2_b32 v15, v16, v17 offset1:2
.LBB0_33:
	s_or_b64 exec, exec, s[2:3]
	v_add_u32_e32 v17, 0xc00, v19
	s_waitcnt lgkmcnt(0)
	s_barrier
	ds_read2_b32 v[15:16], v19 offset1:224
	ds_read2_b32 v[17:18], v17 offset0:16 offset1:240
	ds_read_b32 v28, v19 offset:1792
	ds_read_b32 v33, v19 offset:4928
	s_and_saveexec_b64 s[2:3], s[0:1]
	s_cbranch_execz .LBB0_35
; %bb.34:
	ds_read_b32 v29, v19 offset:2688
	ds_read_b32 v31, v19 offset:5824
	s_waitcnt lgkmcnt(1)
	v_lshrrev_b32_e32 v30, 16, v29
	s_waitcnt lgkmcnt(0)
	v_lshrrev_b32_e32 v53, 16, v31
.LBB0_35:
	s_or_b64 exec, exec, s[2:3]
	s_waitcnt lgkmcnt(2)
	v_lshrrev_b32_e32 v35, 16, v17
	v_mul_f16_sdwa v56, v38, v35 dst_sel:DWORD dst_unused:UNUSED_PAD src0_sel:WORD_1 src1_sel:DWORD
	v_lshrrev_b32_e32 v37, 16, v18
	v_fma_f16 v56, v38, v17, v56
	v_mul_f16_sdwa v17, v38, v17 dst_sel:DWORD dst_unused:UNUSED_PAD src0_sel:WORD_1 src1_sel:DWORD
	v_fma_f16 v17, v38, v35, -v17
	v_mul_f16_sdwa v35, v38, v37 dst_sel:DWORD dst_unused:UNUSED_PAD src0_sel:WORD_1 src1_sel:DWORD
	s_waitcnt lgkmcnt(0)
	v_lshrrev_b32_e32 v55, 16, v33
	v_fma_f16 v35, v38, v18, v35
	v_mul_f16_sdwa v18, v38, v18 dst_sel:DWORD dst_unused:UNUSED_PAD src0_sel:WORD_1 src1_sel:DWORD
	v_fma_f16 v18, v38, v37, -v18
	v_mul_f16_sdwa v37, v38, v55 dst_sel:DWORD dst_unused:UNUSED_PAD src0_sel:WORD_1 src1_sel:DWORD
	v_fma_f16 v37, v38, v33, v37
	v_mul_f16_sdwa v33, v38, v33 dst_sel:DWORD dst_unused:UNUSED_PAD src0_sel:WORD_1 src1_sel:DWORD
	v_fma_f16 v33, v38, v55, -v33
	v_mul_f16_sdwa v55, v38, v53 dst_sel:DWORD dst_unused:UNUSED_PAD src0_sel:WORD_1 src1_sel:DWORD
	v_lshrrev_b32_e32 v34, 16, v15
	v_fma_f16 v55, v38, v31, v55
	v_mul_f16_sdwa v31, v38, v31 dst_sel:DWORD dst_unused:UNUSED_PAD src0_sel:WORD_1 src1_sel:DWORD
	v_lshrrev_b32_e32 v36, 16, v16
	v_fma_f16 v38, v38, v53, -v31
	v_sub_f16_e32 v53, v15, v56
	v_sub_f16_e32 v17, v34, v17
	v_lshrrev_b32_e32 v54, 16, v28
	v_fma_f16 v15, v15, 2.0, -v53
	v_fma_f16 v34, v34, 2.0, -v17
	v_sub_f16_e32 v35, v16, v35
	v_sub_f16_e32 v18, v36, v18
	v_fma_f16 v16, v16, 2.0, -v35
	v_fma_f16 v36, v36, 2.0, -v18
	v_sub_f16_e32 v37, v28, v37
	v_sub_f16_e32 v56, v54, v33
	v_pack_b32_f16 v15, v15, v34
	v_pack_b32_f16 v17, v53, v17
	v_fma_f16 v57, v28, 2.0, -v37
	v_fma_f16 v54, v54, 2.0, -v56
	v_sub_f16_e32 v31, v29, v55
	v_sub_f16_e32 v33, v30, v38
	s_barrier
	ds_write2_b32 v42, v15, v17 offset1:4
	v_pack_b32_f16 v15, v16, v36
	v_pack_b32_f16 v16, v35, v18
	v_fma_f16 v28, v29, 2.0, -v31
	v_fma_f16 v30, v30, 2.0, -v33
	ds_write2_b32 v41, v15, v16 offset1:4
	v_pack_b32_f16 v15, v57, v54
	v_pack_b32_f16 v16, v37, v56
	ds_write2_b32 v40, v15, v16 offset1:4
	s_and_saveexec_b64 s[2:3], s[0:1]
	s_cbranch_execz .LBB0_37
; %bb.36:
	s_movk_i32 s4, 0x7f8
	v_and_or_b32 v15, v27, s4, v32
	s_mov_b32 s4, 0x5040100
	v_lshlrev_b32_e32 v15, 2, v15
	v_perm_b32 v16, v30, v28, s4
	v_perm_b32 v17, v33, v31, s4
	ds_write2_b32 v15, v16, v17 offset1:4
.LBB0_37:
	s_or_b64 exec, exec, s[2:3]
	v_add_u32_e32 v17, 0xc00, v19
	s_waitcnt lgkmcnt(0)
	s_barrier
	ds_read2_b32 v[15:16], v19 offset1:224
	ds_read2_b32 v[17:18], v17 offset0:16 offset1:240
	ds_read_b32 v29, v19 offset:1792
	ds_read_b32 v32, v19 offset:4928
	s_and_saveexec_b64 s[2:3], s[0:1]
	s_cbranch_execz .LBB0_39
; %bb.38:
	ds_read_b32 v28, v19 offset:2688
	ds_read_b32 v31, v19 offset:5824
	s_waitcnt lgkmcnt(1)
	v_lshrrev_b32_e32 v30, 16, v28
	s_waitcnt lgkmcnt(0)
	v_lshrrev_b32_e32 v33, 16, v31
.LBB0_39:
	s_or_b64 exec, exec, s[2:3]
	s_waitcnt lgkmcnt(2)
	v_lshrrev_b32_e32 v35, 16, v17
	v_mul_f16_sdwa v41, v43, v35 dst_sel:DWORD dst_unused:UNUSED_PAD src0_sel:WORD_1 src1_sel:DWORD
	v_lshrrev_b32_e32 v37, 16, v18
	v_fma_f16 v41, v43, v17, v41
	v_mul_f16_sdwa v17, v43, v17 dst_sel:DWORD dst_unused:UNUSED_PAD src0_sel:WORD_1 src1_sel:DWORD
	v_fma_f16 v17, v43, v35, -v17
	v_mul_f16_sdwa v35, v43, v37 dst_sel:DWORD dst_unused:UNUSED_PAD src0_sel:WORD_1 src1_sel:DWORD
	s_waitcnt lgkmcnt(0)
	v_lshrrev_b32_e32 v40, 16, v32
	v_fma_f16 v35, v43, v18, v35
	v_mul_f16_sdwa v18, v43, v18 dst_sel:DWORD dst_unused:UNUSED_PAD src0_sel:WORD_1 src1_sel:DWORD
	v_fma_f16 v18, v43, v37, -v18
	v_mul_f16_sdwa v37, v43, v40 dst_sel:DWORD dst_unused:UNUSED_PAD src0_sel:WORD_1 src1_sel:DWORD
	v_fma_f16 v37, v43, v32, v37
	v_mul_f16_sdwa v32, v43, v32 dst_sel:DWORD dst_unused:UNUSED_PAD src0_sel:WORD_1 src1_sel:DWORD
	v_fma_f16 v32, v43, v40, -v32
	v_mul_f16_sdwa v40, v43, v33 dst_sel:DWORD dst_unused:UNUSED_PAD src0_sel:WORD_1 src1_sel:DWORD
	v_lshrrev_b32_e32 v34, 16, v15
	v_fma_f16 v40, v43, v31, v40
	v_mul_f16_sdwa v31, v43, v31 dst_sel:DWORD dst_unused:UNUSED_PAD src0_sel:WORD_1 src1_sel:DWORD
	v_lshrrev_b32_e32 v36, 16, v16
	v_fma_f16 v31, v43, v33, -v31
	v_sub_f16_e32 v33, v15, v41
	v_sub_f16_e32 v17, v34, v17
	v_lshrrev_b32_e32 v38, 16, v29
	v_fma_f16 v15, v15, 2.0, -v33
	v_fma_f16 v34, v34, 2.0, -v17
	v_sub_f16_e32 v35, v16, v35
	v_sub_f16_e32 v18, v36, v18
	v_fma_f16 v16, v16, 2.0, -v35
	v_fma_f16 v36, v36, 2.0, -v18
	v_sub_f16_e32 v37, v29, v37
	v_sub_f16_e32 v32, v38, v32
	v_pack_b32_f16 v15, v15, v34
	v_pack_b32_f16 v17, v33, v17
	v_fma_f16 v41, v29, 2.0, -v37
	v_fma_f16 v38, v38, 2.0, -v32
	v_sub_f16_e32 v29, v28, v40
	v_sub_f16_e32 v31, v30, v31
	s_barrier
	ds_write2_b32 v48, v15, v17 offset1:8
	v_pack_b32_f16 v15, v16, v36
	v_pack_b32_f16 v16, v35, v18
	v_fma_f16 v28, v28, 2.0, -v29
	v_fma_f16 v30, v30, 2.0, -v31
	ds_write2_b32 v47, v15, v16 offset1:8
	v_pack_b32_f16 v15, v41, v38
	v_pack_b32_f16 v16, v37, v32
	ds_write2_b32 v46, v15, v16 offset1:8
	s_and_saveexec_b64 s[2:3], s[0:1]
	s_cbranch_execz .LBB0_41
; %bb.40:
	s_movk_i32 s4, 0x7f0
	v_and_or_b32 v15, v27, s4, v39
	s_mov_b32 s4, 0x5040100
	v_lshlrev_b32_e32 v15, 2, v15
	v_perm_b32 v16, v30, v28, s4
	v_perm_b32 v17, v31, v29, s4
	ds_write2_b32 v15, v16, v17 offset1:8
.LBB0_41:
	s_or_b64 exec, exec, s[2:3]
	v_add_u32_e32 v17, 0xc00, v19
	s_waitcnt lgkmcnt(0)
	s_barrier
	ds_read2_b32 v[15:16], v19 offset1:224
	ds_read2_b32 v[17:18], v17 offset0:16 offset1:240
	ds_read_b32 v32, v19 offset:1792
	ds_read_b32 v33, v19 offset:4928
	s_and_saveexec_b64 s[2:3], s[0:1]
	s_cbranch_execz .LBB0_43
; %bb.42:
	ds_read_b32 v28, v19 offset:2688
	ds_read_b32 v29, v19 offset:5824
	s_waitcnt lgkmcnt(1)
	v_lshrrev_b32_e32 v30, 16, v28
	s_waitcnt lgkmcnt(0)
	v_lshrrev_b32_e32 v31, 16, v29
.LBB0_43:
	s_or_b64 exec, exec, s[2:3]
	s_waitcnt lgkmcnt(2)
	v_lshrrev_b32_e32 v35, 16, v17
	v_mul_f16_sdwa v40, v45, v35 dst_sel:DWORD dst_unused:UNUSED_PAD src0_sel:WORD_1 src1_sel:DWORD
	v_lshrrev_b32_e32 v37, 16, v18
	v_fma_f16 v40, v45, v17, v40
	v_mul_f16_sdwa v17, v45, v17 dst_sel:DWORD dst_unused:UNUSED_PAD src0_sel:WORD_1 src1_sel:DWORD
	v_fma_f16 v17, v45, v35, -v17
	v_mul_f16_sdwa v35, v45, v37 dst_sel:DWORD dst_unused:UNUSED_PAD src0_sel:WORD_1 src1_sel:DWORD
	s_waitcnt lgkmcnt(0)
	v_lshrrev_b32_e32 v39, 16, v33
	v_fma_f16 v35, v45, v18, v35
	v_mul_f16_sdwa v18, v45, v18 dst_sel:DWORD dst_unused:UNUSED_PAD src0_sel:WORD_1 src1_sel:DWORD
	v_fma_f16 v18, v45, v37, -v18
	v_mul_f16_sdwa v37, v45, v39 dst_sel:DWORD dst_unused:UNUSED_PAD src0_sel:WORD_1 src1_sel:DWORD
	v_lshrrev_b32_e32 v34, 16, v15
	v_fma_f16 v37, v45, v33, v37
	v_mul_f16_sdwa v33, v45, v33 dst_sel:DWORD dst_unused:UNUSED_PAD src0_sel:WORD_1 src1_sel:DWORD
	v_lshrrev_b32_e32 v36, 16, v16
	v_fma_f16 v33, v45, v39, -v33
	v_sub_f16_e32 v39, v15, v40
	v_sub_f16_e32 v17, v34, v17
	v_lshrrev_b32_e32 v38, 16, v32
	v_fma_f16 v15, v15, 2.0, -v39
	v_fma_f16 v34, v34, 2.0, -v17
	v_sub_f16_e32 v35, v16, v35
	v_sub_f16_e32 v18, v36, v18
	v_fma_f16 v16, v16, 2.0, -v35
	v_fma_f16 v36, v36, 2.0, -v18
	v_sub_f16_e32 v37, v32, v37
	v_sub_f16_e32 v33, v38, v33
	v_pack_b32_f16 v15, v15, v34
	v_pack_b32_f16 v17, v39, v17
	v_fma_f16 v32, v32, 2.0, -v37
	v_fma_f16 v38, v38, 2.0, -v33
	s_barrier
	ds_write2_b32 v51, v15, v17 offset1:16
	v_pack_b32_f16 v15, v16, v36
	v_pack_b32_f16 v16, v35, v18
	ds_write2_b32 v50, v15, v16 offset1:16
	v_pack_b32_f16 v15, v32, v38
	v_pack_b32_f16 v16, v37, v33
	ds_write2_b32 v49, v15, v16 offset1:16
	s_and_saveexec_b64 s[2:3], s[0:1]
	s_cbranch_execz .LBB0_45
; %bb.44:
	v_mul_f16_sdwa v15, v45, v31 dst_sel:DWORD dst_unused:UNUSED_PAD src0_sel:WORD_1 src1_sel:DWORD
	v_mul_f16_sdwa v17, v45, v29 dst_sel:DWORD dst_unused:UNUSED_PAD src0_sel:WORD_1 src1_sel:DWORD
	v_fma_f16 v15, v45, v29, v15
	v_fma_f16 v17, v45, v31, -v17
	v_sub_f16_e32 v15, v28, v15
	v_sub_f16_e32 v17, v30, v17
	s_movk_i32 s4, 0x7e0
	v_fma_f16 v16, v28, 2.0, -v15
	v_fma_f16 v18, v30, 2.0, -v17
	v_and_or_b32 v27, v27, s4, v44
	v_lshlrev_b32_e32 v27, 2, v27
	v_pack_b32_f16 v16, v16, v18
	v_pack_b32_f16 v15, v15, v17
	ds_write2_b32 v27, v16, v15 offset1:16
.LBB0_45:
	s_or_b64 exec, exec, s[2:3]
	s_waitcnt lgkmcnt(0)
	s_barrier
	ds_read2_b32 v[15:16], v19 offset1:224
	v_add_u32_e32 v29, 0x700, v19
	ds_read2_b32 v[17:18], v29 offset1:224
	v_add_u32_e32 v30, 0xe00, v19
	ds_read2_b32 v[27:28], v30 offset1:224
	s_waitcnt lgkmcnt(2)
	v_lshrrev_b32_e32 v31, 16, v16
	v_mul_f16_sdwa v38, v0, v31 dst_sel:DWORD dst_unused:UNUSED_PAD src0_sel:WORD_1 src1_sel:DWORD
	s_waitcnt lgkmcnt(1)
	v_lshrrev_b32_e32 v33, 16, v17
	v_fma_f16 v38, v0, v16, v38
	v_mul_f16_sdwa v16, v0, v16 dst_sel:DWORD dst_unused:UNUSED_PAD src0_sel:WORD_1 src1_sel:DWORD
	v_fma_f16 v0, v0, v31, -v16
	v_mul_f16_sdwa v16, v1, v33 dst_sel:DWORD dst_unused:UNUSED_PAD src0_sel:WORD_1 src1_sel:DWORD
	v_lshrrev_b32_e32 v34, 16, v18
	v_fma_f16 v16, v1, v17, v16
	v_mul_f16_sdwa v17, v1, v17 dst_sel:DWORD dst_unused:UNUSED_PAD src0_sel:WORD_1 src1_sel:DWORD
	ds_read_b32 v32, v19 offset:5376
	v_fma_f16 v1, v1, v33, -v17
	v_mul_f16_sdwa v17, v2, v34 dst_sel:DWORD dst_unused:UNUSED_PAD src0_sel:WORD_1 src1_sel:DWORD
	s_waitcnt lgkmcnt(1)
	v_lshrrev_b32_e32 v35, 16, v27
	v_fma_f16 v17, v2, v18, v17
	v_mul_f16_sdwa v18, v2, v18 dst_sel:DWORD dst_unused:UNUSED_PAD src0_sel:WORD_1 src1_sel:DWORD
	v_fma_f16 v2, v2, v34, -v18
	v_mul_f16_sdwa v18, v3, v35 dst_sel:DWORD dst_unused:UNUSED_PAD src0_sel:WORD_1 src1_sel:DWORD
	v_lshrrev_b32_e32 v36, 16, v28
	v_fma_f16 v18, v3, v27, v18
	v_mul_f16_sdwa v27, v3, v27 dst_sel:DWORD dst_unused:UNUSED_PAD src0_sel:WORD_1 src1_sel:DWORD
	v_fma_f16 v3, v3, v35, -v27
	v_mul_f16_sdwa v27, v11, v36 dst_sel:DWORD dst_unused:UNUSED_PAD src0_sel:WORD_1 src1_sel:DWORD
	s_waitcnt lgkmcnt(0)
	v_lshrrev_b32_e32 v37, 16, v32
	v_fma_f16 v27, v11, v28, v27
	v_mul_f16_sdwa v28, v11, v28 dst_sel:DWORD dst_unused:UNUSED_PAD src0_sel:WORD_1 src1_sel:DWORD
	v_fma_f16 v11, v11, v36, -v28
	v_mul_f16_sdwa v28, v12, v37 dst_sel:DWORD dst_unused:UNUSED_PAD src0_sel:WORD_1 src1_sel:DWORD
	v_mul_f16_sdwa v31, v12, v32 dst_sel:DWORD dst_unused:UNUSED_PAD src0_sel:WORD_1 src1_sel:DWORD
	v_fma_f16 v28, v12, v32, v28
	v_fma_f16 v12, v12, v37, -v31
	v_add_f16_e32 v31, v38, v28
	v_add_f16_e32 v32, v0, v12
	v_sub_f16_e32 v0, v0, v12
	v_add_f16_e32 v12, v16, v27
	v_add_f16_e32 v33, v1, v11
	v_sub_f16_e32 v28, v38, v28
	v_sub_f16_e32 v16, v16, v27
	;; [unrolled: 1-line block ×3, first 2 shown]
	v_add_f16_e32 v11, v17, v18
	v_add_f16_e32 v27, v2, v3
	v_sub_f16_e32 v17, v18, v17
	v_sub_f16_e32 v2, v3, v2
	v_add_f16_e32 v3, v12, v31
	v_add_f16_e32 v18, v33, v32
	v_sub_f16_e32 v34, v12, v31
	v_sub_f16_e32 v35, v33, v32
	;; [unrolled: 1-line block ×6, first 2 shown]
	v_add_f16_e32 v36, v17, v16
	v_add_f16_e32 v37, v2, v1
	v_sub_f16_e32 v38, v17, v16
	v_sub_f16_e32 v39, v2, v1
	v_sub_f16_e32 v16, v16, v28
	v_sub_f16_e32 v1, v1, v0
	v_add_f16_e32 v3, v11, v3
	v_add_f16_e32 v11, v27, v18
	v_sub_f16_e32 v17, v28, v17
	v_sub_f16_e32 v2, v0, v2
	v_add_f16_e32 v18, v36, v28
	v_add_f16_e32 v0, v37, v0
	;; [unrolled: 1-line block ×3, first 2 shown]
	v_add_f16_sdwa v15, v15, v11 dst_sel:DWORD dst_unused:UNUSED_PAD src0_sel:WORD_1 src1_sel:DWORD
	v_mul_f16_e32 v28, 0x3a52, v31
	v_mul_f16_e32 v31, 0x3a52, v32
	s_movk_i32 s2, 0x2b26
	v_mul_f16_e32 v32, 0x2b26, v12
	v_mul_f16_e32 v36, 0x2b26, v33
	;; [unrolled: 1-line block ×4, first 2 shown]
	s_mov_b32 s3, 0xbb00
	v_mul_f16_e32 v39, 0xbb00, v16
	v_mul_f16_e32 v40, 0xbb00, v1
	s_mov_b32 s4, 0xbcab
	s_movk_i32 s5, 0x39e0
	s_mov_b32 s12, 0xb9e0
	s_mov_b32 s13, 0xb574
	s_movk_i32 s14, 0x3574
	v_fma_f16 v3, v3, s4, v27
	v_fma_f16 v11, v11, s4, v15
	;; [unrolled: 1-line block ×4, first 2 shown]
	v_fma_f16 v32, v34, s5, -v32
	v_fma_f16 v36, v35, s5, -v36
	;; [unrolled: 1-line block ×4, first 2 shown]
	v_fma_f16 v34, v17, s13, v37
	v_fma_f16 v35, v2, s13, v38
	v_fma_f16 v16, v16, s3, -v37
	v_fma_f16 v1, v1, s3, -v38
	v_fma_f16 v17, v17, s14, -v39
	v_fma_f16 v2, v2, s14, -v40
	s_mov_b32 s15, 0xb70e
	v_add_f16_e32 v12, v12, v3
	v_add_f16_e32 v33, v33, v11
	;; [unrolled: 1-line block ×6, first 2 shown]
	v_fma_f16 v28, v18, s15, v34
	v_fma_f16 v31, v0, s15, v35
	;; [unrolled: 1-line block ×6, first 2 shown]
	v_add_f16_e32 v2, v31, v12
	v_sub_f16_e32 v18, v33, v28
	v_add_f16_e32 v34, v0, v3
	v_sub_f16_e32 v37, v32, v1
	v_add_f16_e32 v38, v16, v36
	v_add_f16_e32 v1, v1, v32
	v_sub_f16_e32 v16, v36, v16
	v_sub_f16_e32 v0, v3, v0
	v_add_f16_e32 v3, v17, v11
	v_sub_f16_e32 v35, v11, v17
	v_sub_f16_e32 v11, v12, v31
	v_add_f16_e32 v12, v28, v33
	v_pack_b32_f16 v15, v27, v15
	v_pack_b32_f16 v2, v2, v18
	;; [unrolled: 1-line block ×4, first 2 shown]
	s_barrier
	ds_write2_b32 v52, v15, v2 offset1:32
	v_pack_b32_f16 v2, v34, v35
	v_pack_b32_f16 v15, v37, v38
	ds_write2_b32 v52, v1, v0 offset0:128 offset1:160
	v_pack_b32_f16 v0, v11, v12
	ds_write2_b32 v52, v2, v15 offset0:64 offset1:96
	ds_write_b32 v52, v0 offset:768
	s_waitcnt lgkmcnt(0)
	s_barrier
	ds_read2_b32 v[0:1], v19 offset1:224
	ds_read2_b32 v[2:3], v29 offset1:224
	;; [unrolled: 1-line block ×3, first 2 shown]
	ds_read_b32 v16, v19 offset:5376
	s_movk_i32 s16, 0x1000
	s_waitcnt lgkmcnt(3)
	v_lshrrev_b32_e32 v15, 16, v1
	v_mul_f16_sdwa v32, v4, v15 dst_sel:DWORD dst_unused:UNUSED_PAD src0_sel:WORD_1 src1_sel:DWORD
	s_waitcnt lgkmcnt(2)
	v_lshrrev_b32_e32 v17, 16, v2
	v_fma_f16 v32, v4, v1, v32
	v_mul_f16_sdwa v1, v4, v1 dst_sel:DWORD dst_unused:UNUSED_PAD src0_sel:WORD_1 src1_sel:DWORD
	v_fma_f16 v1, v4, v15, -v1
	v_mul_f16_sdwa v4, v5, v17 dst_sel:DWORD dst_unused:UNUSED_PAD src0_sel:WORD_1 src1_sel:DWORD
	v_lshrrev_b32_e32 v18, 16, v3
	v_fma_f16 v4, v5, v2, v4
	v_mul_f16_sdwa v2, v5, v2 dst_sel:DWORD dst_unused:UNUSED_PAD src0_sel:WORD_1 src1_sel:DWORD
	v_fma_f16 v2, v5, v17, -v2
	v_mul_f16_sdwa v5, v6, v18 dst_sel:DWORD dst_unused:UNUSED_PAD src0_sel:WORD_1 src1_sel:DWORD
	s_waitcnt lgkmcnt(1)
	v_lshrrev_b32_e32 v27, 16, v11
	v_fma_f16 v5, v6, v3, v5
	v_mul_f16_sdwa v3, v6, v3 dst_sel:DWORD dst_unused:UNUSED_PAD src0_sel:WORD_1 src1_sel:DWORD
	v_fma_f16 v3, v6, v18, -v3
	v_mul_f16_sdwa v6, v7, v27 dst_sel:DWORD dst_unused:UNUSED_PAD src0_sel:WORD_1 src1_sel:DWORD
	v_lshrrev_b32_e32 v28, 16, v12
	v_fma_f16 v6, v7, v11, v6
	v_mul_f16_sdwa v11, v7, v11 dst_sel:DWORD dst_unused:UNUSED_PAD src0_sel:WORD_1 src1_sel:DWORD
	v_fma_f16 v7, v7, v27, -v11
	v_mul_f16_sdwa v11, v13, v28 dst_sel:DWORD dst_unused:UNUSED_PAD src0_sel:WORD_1 src1_sel:DWORD
	s_waitcnt lgkmcnt(0)
	v_lshrrev_b32_e32 v31, 16, v16
	v_fma_f16 v11, v13, v12, v11
	v_mul_f16_sdwa v12, v13, v12 dst_sel:DWORD dst_unused:UNUSED_PAD src0_sel:WORD_1 src1_sel:DWORD
	v_fma_f16 v12, v13, v28, -v12
	v_mul_f16_sdwa v13, v14, v31 dst_sel:DWORD dst_unused:UNUSED_PAD src0_sel:WORD_1 src1_sel:DWORD
	v_mul_f16_sdwa v15, v14, v16 dst_sel:DWORD dst_unused:UNUSED_PAD src0_sel:WORD_1 src1_sel:DWORD
	v_fma_f16 v13, v14, v16, v13
	v_fma_f16 v14, v14, v31, -v15
	v_add_f16_e32 v15, v32, v13
	v_add_f16_e32 v16, v1, v14
	v_sub_f16_e32 v1, v1, v14
	v_add_f16_e32 v14, v4, v11
	v_add_f16_e32 v17, v2, v12
	v_sub_f16_e32 v4, v4, v11
	v_sub_f16_e32 v2, v2, v12
	v_add_f16_e32 v11, v5, v6
	v_add_f16_e32 v12, v3, v7
	v_sub_f16_e32 v5, v6, v5
	;; [unrolled: 4-line block ×3, first 2 shown]
	v_sub_f16_e32 v18, v14, v15
	v_sub_f16_e32 v27, v17, v16
	;; [unrolled: 1-line block ×6, first 2 shown]
	v_add_f16_e32 v28, v5, v4
	v_add_f16_e32 v31, v3, v2
	v_sub_f16_e32 v32, v5, v4
	v_sub_f16_e32 v33, v3, v2
	v_add_f16_e32 v6, v11, v6
	v_add_f16_e32 v7, v12, v7
	v_sub_f16_e32 v5, v13, v5
	v_sub_f16_e32 v3, v1, v3
	v_sub_f16_e32 v4, v4, v13
	v_sub_f16_e32 v2, v2, v1
	v_add_f16_e32 v11, v28, v13
	v_add_f16_e32 v1, v31, v1
	;; [unrolled: 1-line block ×3, first 2 shown]
	v_add_f16_sdwa v0, v0, v7 dst_sel:DWORD dst_unused:UNUSED_PAD src0_sel:WORD_1 src1_sel:DWORD
	v_mul_f16_e32 v13, 0x3a52, v15
	v_mul_f16_e32 v15, 0x3a52, v16
	v_mul_f16_e32 v16, 0x2b26, v14
	v_mul_f16_e32 v28, 0x2b26, v17
	v_mul_f16_e32 v31, 0x3846, v32
	v_mul_f16_e32 v32, 0x3846, v33
	v_mul_f16_e32 v33, 0xbb00, v4
	v_mul_f16_e32 v34, 0xbb00, v2
	v_fma_f16 v6, v6, s4, v12
	v_fma_f16 v7, v7, s4, v0
	;; [unrolled: 1-line block ×4, first 2 shown]
	v_fma_f16 v16, v18, s5, -v16
	v_fma_f16 v28, v27, s5, -v28
	;; [unrolled: 1-line block ×4, first 2 shown]
	v_fma_f16 v18, v5, s13, v31
	v_fma_f16 v27, v3, s13, v32
	v_fma_f16 v4, v4, s3, -v31
	v_fma_f16 v2, v2, s3, -v32
	;; [unrolled: 1-line block ×4, first 2 shown]
	v_add_f16_e32 v14, v14, v6
	v_add_f16_e32 v17, v17, v7
	;; [unrolled: 1-line block ×6, first 2 shown]
	v_fma_f16 v13, v11, s15, v18
	v_fma_f16 v15, v1, s15, v27
	;; [unrolled: 1-line block ×6, first 2 shown]
	v_add_f16_e32 v3, v15, v14
	v_sub_f16_e32 v11, v17, v13
	v_add_f16_e32 v18, v1, v6
	v_sub_f16_e32 v27, v7, v5
	v_sub_f16_e32 v31, v16, v2
	v_add_f16_e32 v32, v4, v28
	v_pack_b32_f16 v0, v12, v0
	v_pack_b32_f16 v3, v3, v11
	v_add_f16_e32 v2, v2, v16
	v_sub_f16_e32 v4, v28, v4
	v_sub_f16_e32 v1, v6, v1
	v_add_f16_e32 v5, v5, v7
	ds_write2_b32 v19, v0, v3 offset1:224
	v_pack_b32_f16 v0, v18, v27
	v_pack_b32_f16 v3, v31, v32
	v_sub_f16_e32 v6, v14, v15
	v_add_f16_e32 v7, v13, v17
	ds_write2_b32 v29, v0, v3 offset1:224
	v_pack_b32_f16 v0, v2, v4
	v_pack_b32_f16 v1, v1, v5
	ds_write2_b32 v30, v0, v1 offset1:224
	v_pack_b32_f16 v0, v6, v7
	ds_write_b32 v19, v0 offset:5376
	s_waitcnt lgkmcnt(0)
	s_barrier
	ds_read2_b32 v[0:1], v19 offset1:224
	s_mov_b32 s12, 0xa72f0539
	s_mov_b32 s13, 0x3f44e5e0
	v_mad_u64_u32 v[3:4], s[2:3], s10, v10, 0
	s_waitcnt lgkmcnt(0)
	v_lshrrev_b32_e32 v7, 16, v0
	v_mul_f16_sdwa v2, v26, v7 dst_sel:DWORD dst_unused:UNUSED_PAD src0_sel:WORD_1 src1_sel:DWORD
	v_fma_f16 v2, v26, v0, v2
	v_cvt_f32_f16_e32 v2, v2
	s_movk_i32 s10, 0x1ff
	v_mul_f16_sdwa v0, v26, v0 dst_sel:DWORD dst_unused:UNUSED_PAD src0_sel:WORD_1 src1_sel:DWORD
	v_fma_f16 v0, v26, v7, -v0
	v_cvt_f64_f32_e32 v[5:6], v2
	v_mov_b32_e32 v2, v4
	v_mad_u64_u32 v[10:11], s[2:3], s11, v10, v[2:3]
	v_mul_f64 v[5:6], v[5:6], s[12:13]
	s_movk_i32 s11, 0xffe
	v_mov_b32_e32 v4, v10
	v_cvt_f32_f16_e32 v0, v0
	s_movk_i32 s14, 0x40f
	s_mov_b32 s15, 0x8000
	v_lshlrev_b64 v[3:4], 2, v[3:4]
	v_and_or_b32 v2, v6, s10, v5
	v_cmp_ne_u32_e32 vcc, 0, v2
	v_cndmask_b32_e64 v2, 0, 1, vcc
	v_lshrrev_b32_e32 v5, 8, v6
	v_bfe_u32 v10, v6, 20, 11
	v_and_or_b32 v5, v5, s11, v2
	v_sub_u32_e32 v11, 0x3f1, v10
	v_or_b32_e32 v2, 0x1000, v5
	v_med3_i32 v11, v11, 0, 13
	v_lshrrev_b32_e32 v12, v11, v2
	v_lshlrev_b32_e32 v11, v11, v12
	v_cmp_ne_u32_e32 vcc, v11, v2
	v_cndmask_b32_e64 v2, 0, 1, vcc
	v_or_b32_e32 v2, v12, v2
	v_add_u32_e32 v12, 0xfffffc10, v10
	v_lshl_or_b32 v10, v12, 12, v5
	v_cmp_gt_i32_e32 vcc, 1, v12
	v_cndmask_b32_e32 v2, v10, v2, vcc
	v_and_b32_e32 v10, 7, v2
	v_cmp_lt_i32_e32 vcc, 5, v10
	v_cmp_eq_u32_e64 s[2:3], 3, v10
	v_cvt_f64_f32_e32 v[10:11], v0
	v_lshrrev_b32_e32 v2, 2, v2
	s_or_b64 vcc, s[2:3], vcc
	v_addc_co_u32_e32 v7, vcc, 0, v2, vcc
	v_mul_f64 v[10:11], v[10:11], s[12:13]
	v_mov_b32_e32 v2, 0x7c00
	v_cmp_gt_i32_e32 vcc, 31, v12
	v_cndmask_b32_e32 v0, v2, v7, vcc
	v_cmp_ne_u32_e32 vcc, 0, v5
	v_cndmask_b32_e64 v5, 0, 1, vcc
	v_lshl_or_b32 v5, v5, 9, v2
	v_cmp_eq_u32_e32 vcc, s14, v12
	v_cndmask_b32_e32 v0, v0, v5, vcc
	v_lshrrev_b32_e32 v5, 16, v6
	v_and_or_b32 v14, v5, s15, v0
	v_and_or_b32 v0, v11, s10, v10
	v_cmp_ne_u32_e32 vcc, 0, v0
	v_cndmask_b32_e64 v0, 0, 1, vcc
	v_lshrrev_b32_e32 v5, 8, v11
	v_bfe_u32 v6, v11, 20, 11
	v_and_or_b32 v0, v5, s11, v0
	v_sub_u32_e32 v7, 0x3f1, v6
	v_or_b32_e32 v5, 0x1000, v0
	v_med3_i32 v7, v7, 0, 13
	v_lshrrev_b32_e32 v10, v7, v5
	v_lshlrev_b32_e32 v7, v7, v10
	v_cmp_ne_u32_e32 vcc, v7, v5
	v_cndmask_b32_e64 v5, 0, 1, vcc
	v_add_u32_e32 v6, 0xfffffc10, v6
	v_or_b32_e32 v5, v10, v5
	v_lshl_or_b32 v7, v6, 12, v0
	v_cmp_gt_i32_e32 vcc, 1, v6
	v_cndmask_b32_e32 v5, v7, v5, vcc
	v_and_b32_e32 v7, 7, v5
	v_cmp_lt_i32_e32 vcc, 5, v7
	v_cmp_eq_u32_e64 s[2:3], 3, v7
	v_lshrrev_b32_e32 v5, 2, v5
	s_or_b64 vcc, s[2:3], vcc
	v_addc_co_u32_e32 v5, vcc, 0, v5, vcc
	v_cmp_gt_i32_e32 vcc, 31, v6
	v_cndmask_b32_e32 v5, v2, v5, vcc
	v_cmp_ne_u32_e32 vcc, 0, v0
	v_cndmask_b32_e64 v0, 0, 1, vcc
	v_lshl_or_b32 v0, v0, 9, v2
	v_cmp_eq_u32_e32 vcc, s14, v6
	v_cndmask_b32_e32 v10, v5, v0, vcc
	v_add_u32_e32 v0, 0xc00, v19
	v_mad_u64_u32 v[5:6], s[2:3], s8, v24, 0
	ds_read2_b32 v[12:13], v0 offset0:16 offset1:240
	v_lshrrev_b32_e32 v11, 16, v11
	v_mov_b32_e32 v0, v6
	v_mad_u64_u32 v[6:7], s[2:3], s9, v24, v[0:1]
	s_waitcnt lgkmcnt(0)
	v_lshrrev_b32_e32 v0, 16, v12
	v_mul_f16_sdwa v7, v25, v0 dst_sel:DWORD dst_unused:UNUSED_PAD src0_sel:WORD_1 src1_sel:DWORD
	v_fma_f16 v7, v25, v12, v7
	v_cvt_f32_f16_e32 v7, v7
	v_and_or_b32 v15, v11, s15, v10
	v_and_b32_e32 v14, 0xffff, v14
	v_mul_f16_sdwa v12, v25, v12 dst_sel:DWORD dst_unused:UNUSED_PAD src0_sel:WORD_1 src1_sel:DWORD
	v_cvt_f64_f32_e32 v[10:11], v7
	v_lshl_or_b32 v7, v15, 16, v14
	v_mov_b32_e32 v14, s7
	v_add_co_u32_e32 v15, vcc, s6, v3
	v_mul_f64 v[10:11], v[10:11], s[12:13]
	v_addc_co_u32_e32 v14, vcc, v14, v4, vcc
	v_lshlrev_b64 v[3:4], 2, v[5:6]
	v_fma_f16 v0, v25, v0, -v12
	v_add_co_u32_e32 v3, vcc, v15, v3
	v_addc_co_u32_e32 v4, vcc, v14, v4, vcc
	v_and_or_b32 v5, v11, s10, v10
	v_cmp_ne_u32_e32 vcc, 0, v5
	v_cndmask_b32_e64 v5, 0, 1, vcc
	v_lshrrev_b32_e32 v6, 8, v11
	global_store_dword v[3:4], v7, off
	v_and_or_b32 v7, v6, s11, v5
	v_bfe_u32 v6, v11, 20, 11
	v_sub_u32_e32 v10, 0x3f1, v6
	v_or_b32_e32 v5, 0x1000, v7
	v_med3_i32 v10, v10, 0, 13
	v_lshrrev_b32_e32 v14, v10, v5
	v_lshlrev_b32_e32 v10, v10, v14
	v_cmp_ne_u32_e32 vcc, v10, v5
	v_cndmask_b32_e64 v5, 0, 1, vcc
	v_add_u32_e32 v10, 0xfffffc10, v6
	v_cvt_f32_f16_e32 v0, v0
	v_or_b32_e32 v5, v14, v5
	v_lshl_or_b32 v6, v10, 12, v7
	v_cmp_gt_i32_e32 vcc, 1, v10
	v_cndmask_b32_e32 v5, v6, v5, vcc
	v_and_b32_e32 v6, 7, v5
	v_cmp_lt_i32_e32 vcc, 5, v6
	v_cmp_eq_u32_e64 s[2:3], 3, v6
	v_lshrrev_b32_e32 v12, 2, v5
	v_cvt_f64_f32_e32 v[5:6], v0
	s_or_b64 vcc, s[2:3], vcc
	v_addc_co_u32_e32 v0, vcc, 0, v12, vcc
	v_mul_f64 v[5:6], v[5:6], s[12:13]
	v_cmp_gt_i32_e32 vcc, 31, v10
	v_cndmask_b32_e32 v0, v2, v0, vcc
	v_cmp_ne_u32_e32 vcc, 0, v7
	v_cndmask_b32_e64 v7, 0, 1, vcc
	v_lshl_or_b32 v7, v7, 9, v2
	v_cmp_eq_u32_e32 vcc, s14, v10
	v_cndmask_b32_e32 v0, v0, v7, vcc
	v_and_or_b32 v5, v6, s10, v5
	v_lshrrev_b32_e32 v7, 16, v11
	v_cmp_ne_u32_e32 vcc, 0, v5
	v_and_or_b32 v0, v7, s15, v0
	v_cndmask_b32_e64 v5, 0, 1, vcc
	v_lshrrev_b32_e32 v7, 8, v6
	v_bfe_u32 v10, v6, 20, 11
	v_and_or_b32 v5, v7, s11, v5
	v_sub_u32_e32 v11, 0x3f1, v10
	v_or_b32_e32 v7, 0x1000, v5
	v_med3_i32 v11, v11, 0, 13
	v_lshrrev_b32_e32 v12, v11, v7
	v_lshlrev_b32_e32 v11, v11, v12
	v_cmp_ne_u32_e32 vcc, v11, v7
	v_cndmask_b32_e64 v7, 0, 1, vcc
	v_add_u32_e32 v10, 0xfffffc10, v10
	v_or_b32_e32 v7, v12, v7
	v_lshl_or_b32 v11, v10, 12, v5
	v_cmp_gt_i32_e32 vcc, 1, v10
	v_cndmask_b32_e32 v7, v11, v7, vcc
	v_and_b32_e32 v11, 7, v7
	v_cmp_lt_i32_e32 vcc, 5, v11
	v_cmp_eq_u32_e64 s[2:3], 3, v11
	v_lshrrev_b32_e32 v7, 2, v7
	s_or_b64 vcc, s[2:3], vcc
	v_addc_co_u32_e32 v7, vcc, 0, v7, vcc
	v_cmp_gt_i32_e32 vcc, 31, v10
	v_cndmask_b32_e32 v7, v2, v7, vcc
	v_cmp_ne_u32_e32 vcc, 0, v5
	v_cndmask_b32_e64 v5, 0, 1, vcc
	v_lshl_or_b32 v5, v5, 9, v2
	v_cmp_eq_u32_e32 vcc, s14, v10
	v_cndmask_b32_e32 v5, v7, v5, vcc
	v_lshrrev_b32_e32 v6, 16, v6
	v_lshrrev_b32_e32 v10, 16, v1
	v_and_or_b32 v7, v6, s15, v5
	v_mul_f16_sdwa v5, v23, v10 dst_sel:DWORD dst_unused:UNUSED_PAD src0_sel:WORD_1 src1_sel:DWORD
	v_fma_f16 v5, v23, v1, v5
	v_cvt_f32_f16_e32 v5, v5
	s_mul_i32 s2, s9, 0x310
	s_mul_hi_u32 s3, s8, 0x310
	s_add_i32 s3, s3, s2
	v_cvt_f64_f32_e32 v[5:6], v5
	s_mul_i32 s2, s8, 0x310
	v_and_b32_e32 v0, 0xffff, v0
	s_lshl_b64 s[6:7], s[2:3], 2
	v_mul_f64 v[5:6], v[5:6], s[12:13]
	v_lshl_or_b32 v0, v7, 16, v0
	v_mov_b32_e32 v7, s7
	v_add_co_u32_e32 v3, vcc, s6, v3
	v_addc_co_u32_e32 v4, vcc, v4, v7, vcc
	global_store_dword v[3:4], v0, off
	v_and_or_b32 v0, v6, s10, v5
	v_cmp_ne_u32_e32 vcc, 0, v0
	v_cndmask_b32_e64 v0, 0, 1, vcc
	v_lshrrev_b32_e32 v5, 8, v6
	v_bfe_u32 v11, v6, 20, 11
	v_and_or_b32 v5, v5, s11, v0
	v_sub_u32_e32 v12, 0x3f1, v11
	v_or_b32_e32 v0, 0x1000, v5
	v_med3_i32 v12, v12, 0, 13
	v_lshrrev_b32_e32 v14, v12, v0
	v_mul_f16_sdwa v1, v23, v1 dst_sel:DWORD dst_unused:UNUSED_PAD src0_sel:WORD_1 src1_sel:DWORD
	v_lshlrev_b32_e32 v12, v12, v14
	v_fma_f16 v1, v23, v10, -v1
	v_cmp_ne_u32_e32 vcc, v12, v0
	v_cvt_f32_f16_e32 v1, v1
	v_cndmask_b32_e64 v0, 0, 1, vcc
	v_add_u32_e32 v11, 0xfffffc10, v11
	v_or_b32_e32 v0, v14, v0
	v_lshl_or_b32 v12, v11, 12, v5
	v_cmp_gt_i32_e32 vcc, 1, v11
	v_cndmask_b32_e32 v0, v12, v0, vcc
	v_and_b32_e32 v12, 7, v0
	v_lshrrev_b32_e32 v10, 2, v0
	v_cvt_f64_f32_e32 v[0:1], v1
	v_cmp_lt_i32_e32 vcc, 5, v12
	v_cmp_eq_u32_e64 s[2:3], 3, v12
	s_or_b64 vcc, s[2:3], vcc
	v_mul_f64 v[0:1], v[0:1], s[12:13]
	v_addc_co_u32_e32 v10, vcc, 0, v10, vcc
	v_cmp_gt_i32_e32 vcc, 31, v11
	v_cndmask_b32_e32 v10, v2, v10, vcc
	v_cmp_ne_u32_e32 vcc, 0, v5
	v_cndmask_b32_e64 v5, 0, 1, vcc
	v_lshl_or_b32 v5, v5, 9, v2
	v_cmp_eq_u32_e32 vcc, s14, v11
	v_and_or_b32 v0, v1, s10, v0
	v_cndmask_b32_e32 v5, v10, v5, vcc
	v_lshrrev_b32_e32 v6, 16, v6
	v_cmp_ne_u32_e32 vcc, 0, v0
	v_and_or_b32 v5, v6, s15, v5
	v_cndmask_b32_e64 v0, 0, 1, vcc
	v_lshrrev_b32_e32 v6, 8, v1
	v_bfe_u32 v10, v1, 20, 11
	v_and_or_b32 v0, v6, s11, v0
	v_sub_u32_e32 v11, 0x3f1, v10
	v_or_b32_e32 v6, 0x1000, v0
	v_med3_i32 v11, v11, 0, 13
	v_lshrrev_b32_e32 v12, v11, v6
	v_lshlrev_b32_e32 v11, v11, v12
	v_cmp_ne_u32_e32 vcc, v11, v6
	v_cndmask_b32_e64 v6, 0, 1, vcc
	v_add_u32_e32 v10, 0xfffffc10, v10
	v_or_b32_e32 v6, v12, v6
	v_lshl_or_b32 v11, v10, 12, v0
	v_cmp_gt_i32_e32 vcc, 1, v10
	v_cndmask_b32_e32 v6, v11, v6, vcc
	v_and_b32_e32 v11, 7, v6
	v_cmp_lt_i32_e32 vcc, 5, v11
	v_cmp_eq_u32_e64 s[2:3], 3, v11
	v_lshrrev_b32_e32 v6, 2, v6
	s_or_b64 vcc, s[2:3], vcc
	v_addc_co_u32_e32 v6, vcc, 0, v6, vcc
	v_cmp_gt_i32_e32 vcc, 31, v10
	v_cndmask_b32_e32 v6, v2, v6, vcc
	v_cmp_ne_u32_e32 vcc, 0, v0
	v_cndmask_b32_e64 v0, 0, 1, vcc
	v_lshl_or_b32 v0, v0, 9, v2
	v_cmp_eq_u32_e32 vcc, s14, v10
	v_cndmask_b32_e32 v0, v6, v0, vcc
	v_lshrrev_b32_e32 v1, 16, v1
	v_lshrrev_b32_e32 v10, 16, v13
	v_and_or_b32 v6, v1, s15, v0
	v_mul_f16_sdwa v0, v22, v10 dst_sel:DWORD dst_unused:UNUSED_PAD src0_sel:WORD_1 src1_sel:DWORD
	v_fma_f16 v0, v22, v13, v0
	v_cvt_f32_f16_e32 v0, v0
	s_mul_hi_u32 s3, s8, 0xfffffdd0
	s_mul_i32 s2, s9, 0xfffffdd0
	s_sub_i32 s3, s3, s8
	v_cvt_f64_f32_e32 v[0:1], v0
	s_add_i32 s3, s3, s2
	s_mul_i32 s2, s8, 0xfffffdd0
	s_lshl_b64 s[4:5], s[2:3], 2
	v_mul_f64 v[0:1], v[0:1], s[12:13]
	v_mov_b32_e32 v11, s5
	v_add_co_u32_e32 v3, vcc, s4, v3
	v_and_b32_e32 v5, 0xffff, v5
	v_addc_co_u32_e32 v4, vcc, v4, v11, vcc
	v_lshl_or_b32 v5, v6, 16, v5
	v_and_or_b32 v0, v1, s10, v0
	v_cmp_ne_u32_e32 vcc, 0, v0
	global_store_dword v[3:4], v5, off
	v_cndmask_b32_e64 v0, 0, 1, vcc
	v_lshrrev_b32_e32 v5, 8, v1
	v_bfe_u32 v6, v1, 20, 11
	v_and_or_b32 v0, v5, s11, v0
	v_sub_u32_e32 v12, 0x3f1, v6
	v_or_b32_e32 v5, 0x1000, v0
	v_med3_i32 v12, v12, 0, 13
	v_lshrrev_b32_e32 v14, v12, v5
	v_lshlrev_b32_e32 v12, v12, v14
	v_mul_f16_sdwa v13, v22, v13 dst_sel:DWORD dst_unused:UNUSED_PAD src0_sel:WORD_1 src1_sel:DWORD
	v_cmp_ne_u32_e32 vcc, v12, v5
	v_fma_f16 v10, v22, v10, -v13
	v_cndmask_b32_e64 v5, 0, 1, vcc
	v_add_u32_e32 v12, 0xfffffc10, v6
	v_cvt_f32_f16_e32 v10, v10
	v_or_b32_e32 v5, v14, v5
	v_lshl_or_b32 v6, v12, 12, v0
	v_cmp_gt_i32_e32 vcc, 1, v12
	v_cndmask_b32_e32 v5, v6, v5, vcc
	v_and_b32_e32 v6, 7, v5
	v_cmp_lt_i32_e32 vcc, 5, v6
	v_cmp_eq_u32_e64 s[2:3], 3, v6
	v_lshrrev_b32_e32 v13, 2, v5
	v_cvt_f64_f32_e32 v[5:6], v10
	s_or_b64 vcc, s[2:3], vcc
	v_addc_co_u32_e32 v10, vcc, 0, v13, vcc
	v_mul_f64 v[5:6], v[5:6], s[12:13]
	v_cmp_gt_i32_e32 vcc, 31, v12
	v_cndmask_b32_e32 v10, v2, v10, vcc
	v_cmp_ne_u32_e32 vcc, 0, v0
	v_cndmask_b32_e64 v0, 0, 1, vcc
	v_lshl_or_b32 v0, v0, 9, v2
	v_cmp_eq_u32_e32 vcc, s14, v12
	v_cndmask_b32_e32 v0, v10, v0, vcc
	v_lshrrev_b32_e32 v1, 16, v1
	v_and_or_b32 v10, v1, s15, v0
	v_and_or_b32 v0, v6, s10, v5
	v_cmp_ne_u32_e32 vcc, 0, v0
	v_cndmask_b32_e64 v0, 0, 1, vcc
	v_lshrrev_b32_e32 v1, 8, v6
	v_bfe_u32 v5, v6, 20, 11
	v_and_or_b32 v0, v1, s11, v0
	v_sub_u32_e32 v12, 0x3f1, v5
	v_or_b32_e32 v1, 0x1000, v0
	v_med3_i32 v12, v12, 0, 13
	v_lshrrev_b32_e32 v13, v12, v1
	v_lshlrev_b32_e32 v12, v12, v13
	v_cmp_ne_u32_e32 vcc, v12, v1
	v_cndmask_b32_e64 v1, 0, 1, vcc
	v_add_u32_e32 v5, 0xfffffc10, v5
	v_or_b32_e32 v1, v13, v1
	v_lshl_or_b32 v12, v5, 12, v0
	v_cmp_gt_i32_e32 vcc, 1, v5
	v_cndmask_b32_e32 v1, v12, v1, vcc
	v_and_b32_e32 v12, 7, v1
	v_cmp_lt_i32_e32 vcc, 5, v12
	v_cmp_eq_u32_e64 s[2:3], 3, v12
	ds_read_b32 v12, v19 offset:1792
	ds_read_b32 v14, v19 offset:4928
	v_lshrrev_b32_e32 v1, 2, v1
	s_or_b64 vcc, s[2:3], vcc
	v_addc_co_u32_e32 v1, vcc, 0, v1, vcc
	v_cmp_gt_i32_e32 vcc, 31, v5
	s_waitcnt lgkmcnt(1)
	v_lshrrev_b32_e32 v15, 16, v12
	v_cndmask_b32_e32 v13, v2, v1, vcc
	v_mul_f16_sdwa v1, v21, v15 dst_sel:DWORD dst_unused:UNUSED_PAD src0_sel:WORD_1 src1_sel:DWORD
	v_fma_f16 v1, v21, v12, v1
	v_cvt_f32_f16_e32 v1, v1
	v_cmp_ne_u32_e32 vcc, 0, v0
	v_cndmask_b32_e64 v0, 0, 1, vcc
	v_lshl_or_b32 v16, v0, 9, v2
	v_cvt_f64_f32_e32 v[0:1], v1
	v_cmp_eq_u32_e32 vcc, s14, v5
	v_cndmask_b32_e32 v5, v13, v16, vcc
	v_lshrrev_b32_e32 v6, 16, v6
	v_mul_f64 v[0:1], v[0:1], s[12:13]
	v_add_co_u32_e32 v3, vcc, s6, v3
	v_and_or_b32 v5, v6, s15, v5
	v_and_b32_e32 v6, 0xffff, v10
	v_addc_co_u32_e32 v4, vcc, v4, v7, vcc
	v_lshl_or_b32 v5, v5, 16, v6
	v_and_or_b32 v0, v1, s10, v0
	v_cmp_ne_u32_e32 vcc, 0, v0
	global_store_dword v[3:4], v5, off
	v_cndmask_b32_e64 v0, 0, 1, vcc
	v_lshrrev_b32_e32 v5, 8, v1
	v_bfe_u32 v6, v1, 20, 11
	v_and_or_b32 v0, v5, s11, v0
	v_sub_u32_e32 v10, 0x3f1, v6
	v_or_b32_e32 v5, 0x1000, v0
	v_med3_i32 v10, v10, 0, 13
	v_lshrrev_b32_e32 v13, v10, v5
	v_lshlrev_b32_e32 v10, v10, v13
	v_mul_f16_sdwa v12, v21, v12 dst_sel:DWORD dst_unused:UNUSED_PAD src0_sel:WORD_1 src1_sel:DWORD
	v_cmp_ne_u32_e32 vcc, v10, v5
	v_fma_f16 v12, v21, v15, -v12
	v_cndmask_b32_e64 v5, 0, 1, vcc
	v_add_u32_e32 v10, 0xfffffc10, v6
	v_cvt_f32_f16_e32 v12, v12
	v_or_b32_e32 v5, v13, v5
	v_lshl_or_b32 v6, v10, 12, v0
	v_cmp_gt_i32_e32 vcc, 1, v10
	v_cndmask_b32_e32 v5, v6, v5, vcc
	v_and_b32_e32 v6, 7, v5
	v_cmp_lt_i32_e32 vcc, 5, v6
	v_cmp_eq_u32_e64 s[2:3], 3, v6
	v_lshrrev_b32_e32 v13, 2, v5
	v_cvt_f64_f32_e32 v[5:6], v12
	s_or_b64 vcc, s[2:3], vcc
	v_addc_co_u32_e32 v12, vcc, 0, v13, vcc
	v_mul_f64 v[5:6], v[5:6], s[12:13]
	v_cmp_gt_i32_e32 vcc, 31, v10
	v_cndmask_b32_e32 v12, v2, v12, vcc
	v_cmp_ne_u32_e32 vcc, 0, v0
	v_cndmask_b32_e64 v0, 0, 1, vcc
	v_lshl_or_b32 v0, v0, 9, v2
	v_cmp_eq_u32_e32 vcc, s14, v10
	v_cndmask_b32_e32 v0, v12, v0, vcc
	v_lshrrev_b32_e32 v1, 16, v1
	v_and_or_b32 v10, v1, s15, v0
	v_and_or_b32 v0, v6, s10, v5
	v_cmp_ne_u32_e32 vcc, 0, v0
	v_cndmask_b32_e64 v0, 0, 1, vcc
	v_lshrrev_b32_e32 v1, 8, v6
	v_bfe_u32 v5, v6, 20, 11
	v_and_or_b32 v0, v1, s11, v0
	v_sub_u32_e32 v12, 0x3f1, v5
	v_or_b32_e32 v1, 0x1000, v0
	v_med3_i32 v12, v12, 0, 13
	v_lshrrev_b32_e32 v13, v12, v1
	v_lshlrev_b32_e32 v12, v12, v13
	v_cmp_ne_u32_e32 vcc, v12, v1
	v_cndmask_b32_e64 v1, 0, 1, vcc
	v_add_u32_e32 v5, 0xfffffc10, v5
	v_or_b32_e32 v1, v13, v1
	v_lshl_or_b32 v12, v5, 12, v0
	v_cmp_gt_i32_e32 vcc, 1, v5
	v_cndmask_b32_e32 v1, v12, v1, vcc
	v_and_b32_e32 v12, 7, v1
	v_cmp_lt_i32_e32 vcc, 5, v12
	v_cmp_eq_u32_e64 s[2:3], 3, v12
	v_lshrrev_b32_e32 v1, 2, v1
	s_or_b64 vcc, s[2:3], vcc
	v_addc_co_u32_e32 v1, vcc, 0, v1, vcc
	v_cmp_gt_i32_e32 vcc, 31, v5
	s_waitcnt lgkmcnt(0)
	v_lshrrev_b32_e32 v13, 16, v14
	v_cndmask_b32_e32 v12, v2, v1, vcc
	v_mul_f16_sdwa v1, v20, v13 dst_sel:DWORD dst_unused:UNUSED_PAD src0_sel:WORD_1 src1_sel:DWORD
	v_fma_f16 v1, v20, v14, v1
	v_cvt_f32_f16_e32 v1, v1
	v_cmp_ne_u32_e32 vcc, 0, v0
	v_cndmask_b32_e64 v0, 0, 1, vcc
	v_lshl_or_b32 v15, v0, 9, v2
	v_cvt_f64_f32_e32 v[0:1], v1
	v_cmp_eq_u32_e32 vcc, s14, v5
	v_cndmask_b32_e32 v5, v12, v15, vcc
	v_lshrrev_b32_e32 v6, 16, v6
	v_mul_f64 v[0:1], v[0:1], s[12:13]
	v_add_co_u32_e32 v3, vcc, s4, v3
	v_and_or_b32 v5, v6, s15, v5
	v_and_b32_e32 v6, 0xffff, v10
	v_addc_co_u32_e32 v4, vcc, v4, v11, vcc
	v_lshl_or_b32 v5, v5, 16, v6
	v_and_or_b32 v0, v1, s10, v0
	v_cmp_ne_u32_e32 vcc, 0, v0
	global_store_dword v[3:4], v5, off
	v_cndmask_b32_e64 v0, 0, 1, vcc
	v_lshrrev_b32_e32 v5, 8, v1
	v_bfe_u32 v6, v1, 20, 11
	v_and_or_b32 v0, v5, s11, v0
	v_sub_u32_e32 v10, 0x3f1, v6
	v_or_b32_e32 v5, 0x1000, v0
	v_med3_i32 v10, v10, 0, 13
	v_lshrrev_b32_e32 v11, v10, v5
	v_lshlrev_b32_e32 v10, v10, v11
	v_cmp_ne_u32_e32 vcc, v10, v5
	v_cndmask_b32_e64 v5, 0, 1, vcc
	v_or_b32_e32 v5, v11, v5
	v_mul_f16_sdwa v11, v20, v14 dst_sel:DWORD dst_unused:UNUSED_PAD src0_sel:WORD_1 src1_sel:DWORD
	v_fma_f16 v11, v20, v13, -v11
	v_add_u32_e32 v10, 0xfffffc10, v6
	v_cvt_f32_f16_e32 v11, v11
	v_lshl_or_b32 v6, v10, 12, v0
	v_cmp_gt_i32_e32 vcc, 1, v10
	v_cndmask_b32_e32 v5, v6, v5, vcc
	v_and_b32_e32 v6, 7, v5
	v_cmp_lt_i32_e32 vcc, 5, v6
	v_cmp_eq_u32_e64 s[2:3], 3, v6
	v_lshrrev_b32_e32 v12, 2, v5
	v_cvt_f64_f32_e32 v[5:6], v11
	s_or_b64 vcc, s[2:3], vcc
	v_addc_co_u32_e32 v11, vcc, 0, v12, vcc
	v_mul_f64 v[5:6], v[5:6], s[12:13]
	v_cmp_gt_i32_e32 vcc, 31, v10
	v_cndmask_b32_e32 v11, v2, v11, vcc
	v_cmp_ne_u32_e32 vcc, 0, v0
	v_cndmask_b32_e64 v0, 0, 1, vcc
	v_lshl_or_b32 v0, v0, 9, v2
	v_cmp_eq_u32_e32 vcc, s14, v10
	v_cndmask_b32_e32 v0, v11, v0, vcc
	v_lshrrev_b32_e32 v1, 16, v1
	v_and_or_b32 v0, v1, s15, v0
	v_and_or_b32 v1, v6, s10, v5
	v_cmp_ne_u32_e32 vcc, 0, v1
	v_cndmask_b32_e64 v1, 0, 1, vcc
	v_lshrrev_b32_e32 v5, 8, v6
	v_bfe_u32 v10, v6, 20, 11
	v_and_or_b32 v1, v5, s11, v1
	v_sub_u32_e32 v11, 0x3f1, v10
	v_or_b32_e32 v5, 0x1000, v1
	v_med3_i32 v11, v11, 0, 13
	v_lshrrev_b32_e32 v12, v11, v5
	v_lshlrev_b32_e32 v11, v11, v12
	v_cmp_ne_u32_e32 vcc, v11, v5
	v_cndmask_b32_e64 v5, 0, 1, vcc
	v_add_u32_e32 v10, 0xfffffc10, v10
	v_or_b32_e32 v5, v12, v5
	v_lshl_or_b32 v11, v10, 12, v1
	v_cmp_gt_i32_e32 vcc, 1, v10
	v_cndmask_b32_e32 v5, v11, v5, vcc
	v_and_b32_e32 v11, 7, v5
	v_cmp_lt_i32_e32 vcc, 5, v11
	v_cmp_eq_u32_e64 s[2:3], 3, v11
	v_lshrrev_b32_e32 v5, 2, v5
	s_or_b64 vcc, s[2:3], vcc
	v_addc_co_u32_e32 v5, vcc, 0, v5, vcc
	v_cmp_gt_i32_e32 vcc, 31, v10
	v_cndmask_b32_e32 v5, v2, v5, vcc
	v_cmp_ne_u32_e32 vcc, 0, v1
	v_cndmask_b32_e64 v1, 0, 1, vcc
	v_lshl_or_b32 v1, v1, 9, v2
	v_cmp_eq_u32_e32 vcc, s14, v10
	v_cndmask_b32_e32 v1, v5, v1, vcc
	v_lshrrev_b32_e32 v5, 16, v6
	v_and_or_b32 v1, v5, s15, v1
	v_and_b32_e32 v0, 0xffff, v0
	v_lshl_or_b32 v5, v1, 16, v0
	v_add_co_u32_e32 v0, vcc, s6, v3
	v_addc_co_u32_e32 v1, vcc, v4, v7, vcc
	global_store_dword v[0:1], v5, off
	s_and_b64 exec, exec, s[0:1]
	s_cbranch_execz .LBB0_47
; %bb.46:
	global_load_dword v5, v[8:9], off offset:2688
	v_add_co_u32_e32 v3, vcc, s16, v8
	v_addc_co_u32_e32 v4, vcc, 0, v9, vcc
	global_load_dword v9, v[3:4], off offset:1728
	ds_read_b32 v3, v19 offset:2688
	ds_read_b32 v10, v19 offset:5824
	v_mov_b32_e32 v12, s5
	v_add_co_u32_e32 v0, vcc, s4, v0
	s_waitcnt lgkmcnt(1)
	v_lshrrev_b32_e32 v4, 16, v3
	s_waitcnt lgkmcnt(0)
	v_lshrrev_b32_e32 v11, 16, v10
	v_addc_co_u32_e32 v1, vcc, v1, v12, vcc
	s_waitcnt vmcnt(1)
	v_mul_f16_sdwa v6, v4, v5 dst_sel:DWORD dst_unused:UNUSED_PAD src0_sel:DWORD src1_sel:WORD_1
	v_mul_f16_sdwa v7, v3, v5 dst_sel:DWORD dst_unused:UNUSED_PAD src0_sel:DWORD src1_sel:WORD_1
	v_fma_f16 v3, v3, v5, v6
	v_fma_f16 v4, v5, v4, -v7
	v_cvt_f32_f16_e32 v3, v3
	s_waitcnt vmcnt(0)
	v_mul_f16_sdwa v5, v11, v9 dst_sel:DWORD dst_unused:UNUSED_PAD src0_sel:DWORD src1_sel:WORD_1
	v_cvt_f32_f16_e32 v6, v4
	v_fma_f16 v5, v10, v9, v5
	v_cvt_f32_f16_e32 v7, v5
	v_cvt_f64_f32_e32 v[3:4], v3
	v_cvt_f64_f32_e32 v[5:6], v6
	;; [unrolled: 1-line block ×3, first 2 shown]
	v_mul_f64 v[3:4], v[3:4], s[12:13]
	v_mul_f64 v[5:6], v[5:6], s[12:13]
	;; [unrolled: 1-line block ×3, first 2 shown]
	v_and_or_b32 v3, v4, s10, v3
	v_and_or_b32 v5, v6, s10, v5
	v_cmp_ne_u32_e32 vcc, 0, v3
	v_lshrrev_b32_e32 v12, 8, v4
	v_bfe_u32 v13, v4, 20, 11
	v_bfe_u32 v15, v6, 20, 11
	v_cndmask_b32_e64 v3, 0, 1, vcc
	v_cmp_ne_u32_e32 vcc, 0, v5
	v_and_or_b32 v7, v8, s10, v7
	v_lshrrev_b32_e32 v14, 8, v6
	v_sub_u32_e32 v16, 0x3f1, v13
	v_cndmask_b32_e64 v5, 0, 1, vcc
	v_sub_u32_e32 v17, 0x3f1, v15
	v_bfe_u32 v19, v8, 20, 11
	v_and_or_b32 v3, v12, s11, v3
	v_cmp_ne_u32_e32 vcc, 0, v7
	v_lshrrev_b32_e32 v18, 8, v8
	v_med3_i32 v12, v16, 0, 13
	v_and_or_b32 v5, v14, s11, v5
	v_med3_i32 v14, v17, 0, 13
	v_cndmask_b32_e64 v7, 0, 1, vcc
	v_sub_u32_e32 v16, 0x3f1, v19
	v_add_u32_e32 v17, 0xfffffc10, v19
	v_or_b32_e32 v19, 0x1000, v3
	v_add_u32_e32 v13, 0xfffffc10, v13
	v_cmp_ne_u32_e32 vcc, 0, v3
	v_or_b32_e32 v21, 0x1000, v5
	v_and_or_b32 v7, v18, s11, v7
	v_lshrrev_b32_e32 v18, v12, v19
	v_add_u32_e32 v15, 0xfffffc10, v15
	v_lshl_or_b32 v20, v13, 12, v3
	v_cndmask_b32_e64 v3, 0, 1, vcc
	v_cmp_ne_u32_e32 vcc, 0, v5
	v_med3_i32 v16, v16, 0, 13
	v_lshrrev_b32_e32 v23, v14, v21
	v_or_b32_e32 v24, 0x1000, v7
	v_lshlrev_b32_e32 v12, v12, v18
	v_lshl_or_b32 v22, v15, 12, v5
	v_cndmask_b32_e64 v5, 0, 1, vcc
	v_lshlrev_b32_e32 v14, v14, v23
	v_lshrrev_b32_e32 v25, v16, v24
	v_cmp_ne_u32_e32 vcc, v12, v19
	v_cndmask_b32_e64 v12, 0, 1, vcc
	v_cmp_ne_u32_e32 vcc, v14, v21
	v_lshlrev_b32_e32 v16, v16, v25
	v_cndmask_b32_e64 v14, 0, 1, vcc
	v_cmp_ne_u32_e32 vcc, v16, v24
	v_or_b32_e32 v12, v18, v12
	v_cndmask_b32_e64 v16, 0, 1, vcc
	v_cmp_gt_i32_e32 vcc, 1, v13
	v_cndmask_b32_e32 v12, v20, v12, vcc
	v_or_b32_e32 v14, v23, v14
	v_cmp_gt_i32_e32 vcc, 1, v15
	v_and_b32_e32 v18, 7, v12
	v_cndmask_b32_e32 v14, v22, v14, vcc
	v_cmp_lt_i32_e32 vcc, 5, v18
	v_cmp_eq_u32_e64 s[0:1], 3, v18
	v_lshrrev_b32_e32 v12, 2, v12
	v_and_b32_e32 v19, 7, v14
	s_or_b64 vcc, s[0:1], vcc
	v_cmp_lt_i32_e64 s[2:3], 5, v19
	v_cmp_eq_u32_e64 s[4:5], 3, v19
	v_addc_co_u32_e32 v12, vcc, 0, v12, vcc
	v_lshrrev_b32_e32 v14, 2, v14
	s_or_b64 vcc, s[4:5], s[2:3]
	v_addc_co_u32_e32 v14, vcc, 0, v14, vcc
	v_cmp_gt_i32_e32 vcc, 31, v13
	v_cndmask_b32_e32 v12, v2, v12, vcc
	v_cmp_gt_i32_e32 vcc, 31, v15
	v_lshl_or_b32 v3, v3, 9, v2
	v_cndmask_b32_e32 v14, v2, v14, vcc
	v_cmp_eq_u32_e32 vcc, s14, v13
	v_lshl_or_b32 v5, v5, 9, v2
	v_cndmask_b32_e32 v3, v12, v3, vcc
	v_cmp_eq_u32_e32 vcc, s14, v15
	v_lshrrev_b32_e32 v4, 16, v4
	v_lshrrev_b32_e32 v6, 16, v6
	v_cndmask_b32_e32 v5, v14, v5, vcc
	v_and_or_b32 v3, v4, s15, v3
	v_and_or_b32 v4, v6, s15, v5
	v_mul_f16_sdwa v5, v10, v9 dst_sel:DWORD dst_unused:UNUSED_PAD src0_sel:DWORD src1_sel:WORD_1
	v_and_b32_e32 v3, 0xffff, v3
	v_fma_f16 v5, v9, v11, -v5
	v_lshl_or_b32 v3, v4, 16, v3
	v_cvt_f32_f16_e32 v5, v5
	v_or_b32_e32 v16, v25, v16
	global_store_dword v[0:1], v3, off
	v_lshl_or_b32 v3, v17, 12, v7
	v_cmp_gt_i32_e32 vcc, 1, v17
	v_cndmask_b32_e32 v3, v3, v16, vcc
	v_and_b32_e32 v4, 7, v3
	v_cmp_lt_i32_e32 vcc, 5, v4
	v_cmp_eq_u32_e64 s[0:1], 3, v4
	v_lshrrev_b32_e32 v6, 2, v3
	v_cvt_f64_f32_e32 v[3:4], v5
	s_or_b64 vcc, s[0:1], vcc
	v_addc_co_u32_e32 v5, vcc, 0, v6, vcc
	v_mul_f64 v[3:4], v[3:4], s[12:13]
	v_cmp_gt_i32_e32 vcc, 31, v17
	v_cndmask_b32_e32 v5, v2, v5, vcc
	v_cmp_ne_u32_e32 vcc, 0, v7
	v_cndmask_b32_e64 v6, 0, 1, vcc
	v_lshl_or_b32 v6, v6, 9, v2
	v_cmp_eq_u32_e32 vcc, s14, v17
	v_cndmask_b32_e32 v5, v5, v6, vcc
	v_and_or_b32 v3, v4, s10, v3
	v_lshrrev_b32_e32 v6, 16, v8
	v_cmp_ne_u32_e32 vcc, 0, v3
	v_and_or_b32 v5, v6, s15, v5
	v_cndmask_b32_e64 v3, 0, 1, vcc
	v_lshrrev_b32_e32 v6, 8, v4
	v_bfe_u32 v7, v4, 20, 11
	v_and_or_b32 v3, v6, s11, v3
	v_sub_u32_e32 v8, 0x3f1, v7
	v_or_b32_e32 v6, 0x1000, v3
	v_med3_i32 v8, v8, 0, 13
	v_lshrrev_b32_e32 v9, v8, v6
	v_lshlrev_b32_e32 v8, v8, v9
	v_cmp_ne_u32_e32 vcc, v8, v6
	v_cndmask_b32_e64 v6, 0, 1, vcc
	v_add_u32_e32 v7, 0xfffffc10, v7
	v_or_b32_e32 v6, v9, v6
	v_lshl_or_b32 v8, v7, 12, v3
	v_cmp_gt_i32_e32 vcc, 1, v7
	v_cndmask_b32_e32 v6, v8, v6, vcc
	v_and_b32_e32 v8, 7, v6
	v_cmp_lt_i32_e32 vcc, 5, v8
	v_cmp_eq_u32_e64 s[0:1], 3, v8
	v_lshrrev_b32_e32 v6, 2, v6
	s_or_b64 vcc, s[0:1], vcc
	v_addc_co_u32_e32 v6, vcc, 0, v6, vcc
	v_cmp_gt_i32_e32 vcc, 31, v7
	v_cndmask_b32_e32 v6, v2, v6, vcc
	v_cmp_ne_u32_e32 vcc, 0, v3
	v_cndmask_b32_e64 v3, 0, 1, vcc
	v_lshl_or_b32 v2, v3, 9, v2
	v_cmp_eq_u32_e32 vcc, s14, v7
	v_cndmask_b32_e32 v2, v6, v2, vcc
	v_lshrrev_b32_e32 v3, 16, v4
	v_and_or_b32 v2, v3, s15, v2
	v_and_b32_e32 v3, 0xffff, v5
	v_lshl_or_b32 v2, v2, 16, v3
	v_mov_b32_e32 v3, s7
	v_add_co_u32_e32 v0, vcc, s6, v0
	v_addc_co_u32_e32 v1, vcc, v1, v3, vcc
	global_store_dword v[0:1], v2, off
.LBB0_47:
	s_endpgm
	.section	.rodata,"a",@progbits
	.p2align	6, 0x0
	.amdhsa_kernel bluestein_single_fwd_len1568_dim1_half_op_CI_CI
		.amdhsa_group_segment_fixed_size 6272
		.amdhsa_private_segment_fixed_size 0
		.amdhsa_kernarg_size 104
		.amdhsa_user_sgpr_count 6
		.amdhsa_user_sgpr_private_segment_buffer 1
		.amdhsa_user_sgpr_dispatch_ptr 0
		.amdhsa_user_sgpr_queue_ptr 0
		.amdhsa_user_sgpr_kernarg_segment_ptr 1
		.amdhsa_user_sgpr_dispatch_id 0
		.amdhsa_user_sgpr_flat_scratch_init 0
		.amdhsa_user_sgpr_private_segment_size 0
		.amdhsa_uses_dynamic_stack 0
		.amdhsa_system_sgpr_private_segment_wavefront_offset 0
		.amdhsa_system_sgpr_workgroup_id_x 1
		.amdhsa_system_sgpr_workgroup_id_y 0
		.amdhsa_system_sgpr_workgroup_id_z 0
		.amdhsa_system_sgpr_workgroup_info 0
		.amdhsa_system_vgpr_workitem_id 0
		.amdhsa_next_free_vgpr 76
		.amdhsa_next_free_sgpr 21
		.amdhsa_reserve_vcc 1
		.amdhsa_reserve_flat_scratch 0
		.amdhsa_float_round_mode_32 0
		.amdhsa_float_round_mode_16_64 0
		.amdhsa_float_denorm_mode_32 3
		.amdhsa_float_denorm_mode_16_64 3
		.amdhsa_dx10_clamp 1
		.amdhsa_ieee_mode 1
		.amdhsa_fp16_overflow 0
		.amdhsa_exception_fp_ieee_invalid_op 0
		.amdhsa_exception_fp_denorm_src 0
		.amdhsa_exception_fp_ieee_div_zero 0
		.amdhsa_exception_fp_ieee_overflow 0
		.amdhsa_exception_fp_ieee_underflow 0
		.amdhsa_exception_fp_ieee_inexact 0
		.amdhsa_exception_int_div_zero 0
	.end_amdhsa_kernel
	.text
.Lfunc_end0:
	.size	bluestein_single_fwd_len1568_dim1_half_op_CI_CI, .Lfunc_end0-bluestein_single_fwd_len1568_dim1_half_op_CI_CI
                                        ; -- End function
	.section	.AMDGPU.csdata,"",@progbits
; Kernel info:
; codeLenInByte = 13796
; NumSgprs: 25
; NumVgprs: 76
; ScratchSize: 0
; MemoryBound: 0
; FloatMode: 240
; IeeeMode: 1
; LDSByteSize: 6272 bytes/workgroup (compile time only)
; SGPRBlocks: 3
; VGPRBlocks: 18
; NumSGPRsForWavesPerEU: 25
; NumVGPRsForWavesPerEU: 76
; Occupancy: 3
; WaveLimiterHint : 1
; COMPUTE_PGM_RSRC2:SCRATCH_EN: 0
; COMPUTE_PGM_RSRC2:USER_SGPR: 6
; COMPUTE_PGM_RSRC2:TRAP_HANDLER: 0
; COMPUTE_PGM_RSRC2:TGID_X_EN: 1
; COMPUTE_PGM_RSRC2:TGID_Y_EN: 0
; COMPUTE_PGM_RSRC2:TGID_Z_EN: 0
; COMPUTE_PGM_RSRC2:TIDIG_COMP_CNT: 0
	.type	__hip_cuid_8e2e54bb3c1d5654,@object ; @__hip_cuid_8e2e54bb3c1d5654
	.section	.bss,"aw",@nobits
	.globl	__hip_cuid_8e2e54bb3c1d5654
__hip_cuid_8e2e54bb3c1d5654:
	.byte	0                               ; 0x0
	.size	__hip_cuid_8e2e54bb3c1d5654, 1

	.ident	"AMD clang version 19.0.0git (https://github.com/RadeonOpenCompute/llvm-project roc-6.4.0 25133 c7fe45cf4b819c5991fe208aaa96edf142730f1d)"
	.section	".note.GNU-stack","",@progbits
	.addrsig
	.addrsig_sym __hip_cuid_8e2e54bb3c1d5654
	.amdgpu_metadata
---
amdhsa.kernels:
  - .args:
      - .actual_access:  read_only
        .address_space:  global
        .offset:         0
        .size:           8
        .value_kind:     global_buffer
      - .actual_access:  read_only
        .address_space:  global
        .offset:         8
        .size:           8
        .value_kind:     global_buffer
      - .actual_access:  read_only
        .address_space:  global
        .offset:         16
        .size:           8
        .value_kind:     global_buffer
      - .actual_access:  read_only
        .address_space:  global
        .offset:         24
        .size:           8
        .value_kind:     global_buffer
      - .actual_access:  read_only
        .address_space:  global
        .offset:         32
        .size:           8
        .value_kind:     global_buffer
      - .offset:         40
        .size:           8
        .value_kind:     by_value
      - .address_space:  global
        .offset:         48
        .size:           8
        .value_kind:     global_buffer
      - .address_space:  global
        .offset:         56
        .size:           8
        .value_kind:     global_buffer
      - .address_space:  global
        .offset:         64
        .size:           8
        .value_kind:     global_buffer
      - .address_space:  global
        .offset:         72
        .size:           8
        .value_kind:     global_buffer
      - .offset:         80
        .size:           4
        .value_kind:     by_value
      - .address_space:  global
        .offset:         88
        .size:           8
        .value_kind:     global_buffer
      - .address_space:  global
        .offset:         96
        .size:           8
        .value_kind:     global_buffer
    .group_segment_fixed_size: 6272
    .kernarg_segment_align: 8
    .kernarg_segment_size: 104
    .language:       OpenCL C
    .language_version:
      - 2
      - 0
    .max_flat_workgroup_size: 224
    .name:           bluestein_single_fwd_len1568_dim1_half_op_CI_CI
    .private_segment_fixed_size: 0
    .sgpr_count:     25
    .sgpr_spill_count: 0
    .symbol:         bluestein_single_fwd_len1568_dim1_half_op_CI_CI.kd
    .uniform_work_group_size: 1
    .uses_dynamic_stack: false
    .vgpr_count:     76
    .vgpr_spill_count: 0
    .wavefront_size: 64
amdhsa.target:   amdgcn-amd-amdhsa--gfx906
amdhsa.version:
  - 1
  - 2
...

	.end_amdgpu_metadata
